;; amdgpu-corpus repo=ROCm/hipCUB kind=compiled arch=gfx906 opt=O3
	.amdgcn_target "amdgcn-amd-amdhsa--gfx906"
	.amdhsa_code_object_version 6
	.section	.text._Z11rank_kernelILj193ELj2ELj4ELb1EL18RadixRankAlgorithm0E12hip_bfloat16EvPKT4_Pijj,"axG",@progbits,_Z11rank_kernelILj193ELj2ELj4ELb1EL18RadixRankAlgorithm0E12hip_bfloat16EvPKT4_Pijj,comdat
	.protected	_Z11rank_kernelILj193ELj2ELj4ELb1EL18RadixRankAlgorithm0E12hip_bfloat16EvPKT4_Pijj ; -- Begin function _Z11rank_kernelILj193ELj2ELj4ELb1EL18RadixRankAlgorithm0E12hip_bfloat16EvPKT4_Pijj
	.globl	_Z11rank_kernelILj193ELj2ELj4ELb1EL18RadixRankAlgorithm0E12hip_bfloat16EvPKT4_Pijj
	.p2align	8
	.type	_Z11rank_kernelILj193ELj2ELj4ELb1EL18RadixRankAlgorithm0E12hip_bfloat16EvPKT4_Pijj,@function
_Z11rank_kernelILj193ELj2ELj4ELb1EL18RadixRankAlgorithm0E12hip_bfloat16EvPKT4_Pijj: ; @_Z11rank_kernelILj193ELj2ELj4ELb1EL18RadixRankAlgorithm0E12hip_bfloat16EvPKT4_Pijj
; %bb.0:
	s_load_dwordx4 s[0:3], s[4:5], 0x0
	s_mulk_i32 s6, 0x182
	s_mov_b32 s7, 0
	s_lshl_b64 s[8:9], s[6:7], 1
	v_lshlrev_b32_e32 v5, 2, v0
	s_waitcnt lgkmcnt(0)
	s_add_u32 s0, s0, s8
	s_addc_u32 s1, s1, s9
	global_load_dword v3, v5, s[0:1]
	s_movk_i32 s0, 0x3c5
	v_mov_b32_e32 v1, 0
	v_cmp_gt_u32_e32 vcc, s0, v0
	ds_write2_b32 v5, v1, v1 offset1:193
	ds_write_b32 v5, v1 offset:1544
	s_and_saveexec_b64 s[0:1], vcc
	s_cbranch_execz .LBB0_6
; %bb.1:
	s_movk_i32 s8, 0x304
	v_cmp_gt_u32_e32 vcc, s8, v0
	ds_write_b32 v5, v1 offset:2316
	s_and_b64 exec, exec, vcc
	s_cbranch_execz .LBB0_6
; %bb.2:
	s_movk_i32 s8, 0x243
	v_mov_b32_e32 v1, 0
	v_cmp_gt_u32_e32 vcc, s8, v0
	ds_write_b32 v5, v1 offset:3088
	s_and_b64 exec, exec, vcc
	s_cbranch_execz .LBB0_6
; %bb.3:
	s_movk_i32 s8, 0x182
	v_cmp_gt_u32_e32 vcc, s8, v0
	ds_write_b32 v5, v1 offset:3860
	s_and_b64 exec, exec, vcc
	s_cbranch_execz .LBB0_6
; %bb.4:
	s_movk_i32 s8, 0xc1
	v_mov_b32_e32 v1, 0
	v_cmp_gt_u32_e32 vcc, s8, v0
	ds_write_b32 v5, v1 offset:4632
	s_and_b64 exec, exec, vcc
; %bb.5:
	ds_write_b32 v5, v1 offset:5404
.LBB0_6:
	s_or_b64 exec, exec, s[0:1]
	s_load_dwordx2 s[0:1], s[4:5], 0x10
	v_mov_b32_e32 v4, 0xffff8000
	s_waitcnt vmcnt(0)
	v_cmp_lt_i16_e32 vcc, -1, v3
	v_cndmask_b32_e32 v1, -1, v4, vcc
	v_xor_b32_e32 v1, v1, v3
	s_waitcnt lgkmcnt(0)
	s_and_b32 s1, s1, 31
	s_cmp_eq_u32 s1, 0
	s_cselect_b64 s[4:5], -1, 0
	s_and_b32 s0, s0, 31
	s_movk_i32 s8, 0x7fff
	s_add_i32 s0, s0, s1
	v_cmp_ne_u16_e32 vcc, s8, v1
	s_sub_i32 s0, 32, s0
	v_cndmask_b32_e32 v1, v4, v1, vcc
	s_sub_i32 s1, 32, s1
	v_lshlrev_b32_sdwa v1, s0, v1 dst_sel:DWORD dst_unused:UNUSED_PAD src0_sel:DWORD src1_sel:WORD_0
	v_bfe_u32 v1, v1, s1, 16
	v_mov_b32_e32 v6, -1
	v_xor_b32_e32 v1, 15, v1
	v_cmp_gt_i16_sdwa vcc, v3, v6 src0_sel:WORD_1 src1_sel:DWORD
	v_cndmask_b32_e64 v1, v1, 15, s[4:5]
	v_cndmask_b32_e32 v6, -1, v4, vcc
	v_and_b32_e32 v2, 7, v1
	s_movk_i32 s9, 0xc1
	v_lshrrev_b32_e32 v1, 2, v1
	v_xor_b32_sdwa v3, v6, v3 dst_sel:DWORD dst_unused:UNUSED_PAD src0_sel:DWORD src1_sel:WORD_1
	v_mad_u32_u24 v2, v2, s9, v0
	v_and_b32_e32 v1, 0x3ffe, v1
	v_cmp_ne_u16_e32 vcc, s8, v3
	v_lshl_add_u32 v2, v2, 2, v1
	v_cndmask_b32_e32 v3, v4, v3, vcc
	ds_read_u16 v1, v2
	v_lshlrev_b32_sdwa v3, s0, v3 dst_sel:DWORD dst_unused:UNUSED_PAD src0_sel:DWORD src1_sel:WORD_0
	v_bfe_u32 v3, v3, s1, 16
	v_xor_b32_e32 v3, 15, v3
	v_cndmask_b32_e64 v3, v3, 15, s[4:5]
	v_and_b32_e32 v4, 7, v3
	v_lshrrev_b32_e32 v3, 2, v3
	s_waitcnt lgkmcnt(0)
	v_add_u16_e32 v6, 1, v1
	v_mad_u32_u24 v4, v4, s9, v0
	v_and_b32_e32 v3, 0x3ffe, v3
	ds_write_b16 v2, v6
	v_lshl_add_u32 v4, v4, 2, v3
	ds_read_u16 v3, v4
	v_mad_u32_u24 v5, v0, 28, v5
	s_waitcnt lgkmcnt(0)
	v_add_u16_e32 v6, 1, v3
	ds_write_b16 v4, v6
	s_waitcnt lgkmcnt(0)
	s_barrier
	ds_read_b128 v[6:9], v5
	ds_read_b128 v[10:13], v5 offset:16
	s_waitcnt lgkmcnt(1)
	v_add_u32_e32 v6, v7, v6
	v_add3_u32 v6, v6, v8, v9
	s_waitcnt lgkmcnt(0)
	v_add3_u32 v6, v6, v10, v11
	v_add3_u32 v7, v6, v12, v13
	v_mbcnt_lo_u32_b32 v6, -1, 0
	v_mbcnt_hi_u32_b32 v6, -1, v6
	v_and_b32_e32 v8, 15, v6
	v_mov_b32_dpp v9, v7 row_shr:1 row_mask:0xf bank_mask:0xf
	v_cmp_ne_u32_e32 vcc, 0, v8
	v_cndmask_b32_e32 v9, 0, v9, vcc
	v_add_u32_e32 v7, v9, v7
	v_cmp_lt_u32_e32 vcc, 1, v8
	s_nop 0
	v_mov_b32_dpp v9, v7 row_shr:2 row_mask:0xf bank_mask:0xf
	v_cndmask_b32_e32 v9, 0, v9, vcc
	v_add_u32_e32 v7, v7, v9
	v_cmp_lt_u32_e32 vcc, 3, v8
	s_nop 0
	v_mov_b32_dpp v9, v7 row_shr:4 row_mask:0xf bank_mask:0xf
	;; [unrolled: 5-line block ×3, first 2 shown]
	v_cndmask_b32_e32 v8, 0, v9, vcc
	v_add_u32_e32 v7, v7, v8
	v_bfe_i32 v9, v6, 4, 1
	v_cmp_lt_u32_e32 vcc, 31, v6
	v_mov_b32_dpp v8, v7 row_bcast:15 row_mask:0xf bank_mask:0xf
	v_and_b32_e32 v8, v9, v8
	v_add_u32_e32 v7, v7, v8
	v_and_b32_e32 v9, 0xc0, v0
	v_min_u32_e32 v9, 0x81, v9
	v_mov_b32_dpp v8, v7 row_bcast:31 row_mask:0xf bank_mask:0xf
	v_cndmask_b32_e32 v8, 0, v8, vcc
	v_add_u32_e32 v8, v7, v8
	v_lshrrev_b32_e32 v7, 6, v0
	v_add_u32_e32 v9, 63, v9
	v_cmp_eq_u32_e32 vcc, v0, v9
	v_lshlrev_b32_e32 v9, 2, v7
	s_and_saveexec_b64 s[0:1], vcc
; %bb.7:
	ds_write_b32 v9, v8 offset:6176
; %bb.8:
	s_or_b64 exec, exec, s[0:1]
	v_lshlrev_b32_e32 v7, 1, v0
	v_cmp_gt_u32_e32 vcc, 4, v0
	s_waitcnt lgkmcnt(0)
	s_barrier
	s_and_saveexec_b64 s[0:1], vcc
	s_cbranch_execz .LBB0_10
; %bb.9:
	s_movk_i32 s4, 0xffe4
	v_mad_i32_i24 v10, v0, s4, v5
	ds_read_b32 v11, v10 offset:6176
	v_and_b32_e32 v12, 3, v6
	v_cmp_ne_u32_e32 vcc, 0, v12
	s_waitcnt lgkmcnt(0)
	v_mov_b32_dpp v13, v11 row_shr:1 row_mask:0xf bank_mask:0xf
	v_cndmask_b32_e32 v13, 0, v13, vcc
	v_add_u32_e32 v11, v13, v11
	v_cmp_lt_u32_e32 vcc, 1, v12
	s_nop 0
	v_mov_b32_dpp v13, v11 row_shr:2 row_mask:0xf bank_mask:0xf
	v_cndmask_b32_e32 v12, 0, v13, vcc
	v_add_u32_e32 v11, v11, v12
	ds_write_b32 v10, v11 offset:6176
.LBB0_10:
	s_or_b64 exec, exec, s[0:1]
	v_cmp_lt_u32_e32 vcc, 63, v0
	v_mov_b32_e32 v10, 0
	v_mov_b32_e32 v0, 0
	s_waitcnt lgkmcnt(0)
	s_barrier
	s_and_saveexec_b64 s[0:1], vcc
; %bb.11:
	ds_read_b32 v0, v9 offset:6172
; %bb.12:
	s_or_b64 exec, exec, s[0:1]
	v_subrev_co_u32_e32 v9, vcc, 1, v6
	v_and_b32_e32 v11, 64, v6
	v_cmp_lt_i32_e64 s[0:1], v9, v11
	v_cndmask_b32_e64 v6, v9, v6, s[0:1]
	s_waitcnt lgkmcnt(0)
	v_add_u32_e32 v8, v0, v8
	v_lshlrev_b32_e32 v6, 2, v6
	ds_bpermute_b32 v6, v6, v8
	ds_read_b32 v12, v10 offset:6188
	ds_read_b128 v[8:11], v5
	ds_read_b96 v[16:18], v5 offset:16
	s_lshl_b64 s[0:1], s[6:7], 2
	s_add_u32 s0, s2, s0
	s_waitcnt lgkmcnt(3)
	v_cndmask_b32_e32 v0, v6, v0, vcc
	s_waitcnt lgkmcnt(2)
	v_lshl_add_u32 v12, v12, 16, v0
	s_waitcnt lgkmcnt(1)
	v_add_u32_e32 v13, v12, v8
	v_add_u32_e32 v14, v9, v13
	;; [unrolled: 1-line block ×4, first 2 shown]
	s_waitcnt lgkmcnt(0)
	v_add_u32_e32 v9, v16, v8
	v_add_u32_e32 v10, v17, v9
	;; [unrolled: 1-line block ×3, first 2 shown]
	ds_write_b128 v5, v[12:15]
	ds_write_b128 v5, v[8:11] offset:16
	s_waitcnt lgkmcnt(0)
	s_barrier
	ds_read_u16 v0, v2
	ds_read_u16 v2, v4
	s_addc_u32 s1, s3, s1
	s_waitcnt lgkmcnt(1)
	v_add_u32_sdwa v0, v0, v1 dst_sel:DWORD dst_unused:UNUSED_PAD src0_sel:DWORD src1_sel:WORD_0
	s_waitcnt lgkmcnt(0)
	v_add_u32_sdwa v1, v2, v3 dst_sel:DWORD dst_unused:UNUSED_PAD src0_sel:DWORD src1_sel:WORD_0
	v_lshlrev_b32_e32 v2, 2, v7
	global_store_dwordx2 v2, v[0:1], s[0:1]
	s_endpgm
	.section	.rodata,"a",@progbits
	.p2align	6, 0x0
	.amdhsa_kernel _Z11rank_kernelILj193ELj2ELj4ELb1EL18RadixRankAlgorithm0E12hip_bfloat16EvPKT4_Pijj
		.amdhsa_group_segment_fixed_size 6192
		.amdhsa_private_segment_fixed_size 0
		.amdhsa_kernarg_size 24
		.amdhsa_user_sgpr_count 6
		.amdhsa_user_sgpr_private_segment_buffer 1
		.amdhsa_user_sgpr_dispatch_ptr 0
		.amdhsa_user_sgpr_queue_ptr 0
		.amdhsa_user_sgpr_kernarg_segment_ptr 1
		.amdhsa_user_sgpr_dispatch_id 0
		.amdhsa_user_sgpr_flat_scratch_init 0
		.amdhsa_user_sgpr_private_segment_size 0
		.amdhsa_uses_dynamic_stack 0
		.amdhsa_system_sgpr_private_segment_wavefront_offset 0
		.amdhsa_system_sgpr_workgroup_id_x 1
		.amdhsa_system_sgpr_workgroup_id_y 0
		.amdhsa_system_sgpr_workgroup_id_z 0
		.amdhsa_system_sgpr_workgroup_info 0
		.amdhsa_system_vgpr_workitem_id 0
		.amdhsa_next_free_vgpr 19
		.amdhsa_next_free_sgpr 10
		.amdhsa_reserve_vcc 1
		.amdhsa_reserve_flat_scratch 0
		.amdhsa_float_round_mode_32 0
		.amdhsa_float_round_mode_16_64 0
		.amdhsa_float_denorm_mode_32 3
		.amdhsa_float_denorm_mode_16_64 3
		.amdhsa_dx10_clamp 1
		.amdhsa_ieee_mode 1
		.amdhsa_fp16_overflow 0
		.amdhsa_exception_fp_ieee_invalid_op 0
		.amdhsa_exception_fp_denorm_src 0
		.amdhsa_exception_fp_ieee_div_zero 0
		.amdhsa_exception_fp_ieee_overflow 0
		.amdhsa_exception_fp_ieee_underflow 0
		.amdhsa_exception_fp_ieee_inexact 0
		.amdhsa_exception_int_div_zero 0
	.end_amdhsa_kernel
	.section	.text._Z11rank_kernelILj193ELj2ELj4ELb1EL18RadixRankAlgorithm0E12hip_bfloat16EvPKT4_Pijj,"axG",@progbits,_Z11rank_kernelILj193ELj2ELj4ELb1EL18RadixRankAlgorithm0E12hip_bfloat16EvPKT4_Pijj,comdat
.Lfunc_end0:
	.size	_Z11rank_kernelILj193ELj2ELj4ELb1EL18RadixRankAlgorithm0E12hip_bfloat16EvPKT4_Pijj, .Lfunc_end0-_Z11rank_kernelILj193ELj2ELj4ELb1EL18RadixRankAlgorithm0E12hip_bfloat16EvPKT4_Pijj
                                        ; -- End function
	.set _Z11rank_kernelILj193ELj2ELj4ELb1EL18RadixRankAlgorithm0E12hip_bfloat16EvPKT4_Pijj.num_vgpr, 19
	.set _Z11rank_kernelILj193ELj2ELj4ELb1EL18RadixRankAlgorithm0E12hip_bfloat16EvPKT4_Pijj.num_agpr, 0
	.set _Z11rank_kernelILj193ELj2ELj4ELb1EL18RadixRankAlgorithm0E12hip_bfloat16EvPKT4_Pijj.numbered_sgpr, 10
	.set _Z11rank_kernelILj193ELj2ELj4ELb1EL18RadixRankAlgorithm0E12hip_bfloat16EvPKT4_Pijj.num_named_barrier, 0
	.set _Z11rank_kernelILj193ELj2ELj4ELb1EL18RadixRankAlgorithm0E12hip_bfloat16EvPKT4_Pijj.private_seg_size, 0
	.set _Z11rank_kernelILj193ELj2ELj4ELb1EL18RadixRankAlgorithm0E12hip_bfloat16EvPKT4_Pijj.uses_vcc, 1
	.set _Z11rank_kernelILj193ELj2ELj4ELb1EL18RadixRankAlgorithm0E12hip_bfloat16EvPKT4_Pijj.uses_flat_scratch, 0
	.set _Z11rank_kernelILj193ELj2ELj4ELb1EL18RadixRankAlgorithm0E12hip_bfloat16EvPKT4_Pijj.has_dyn_sized_stack, 0
	.set _Z11rank_kernelILj193ELj2ELj4ELb1EL18RadixRankAlgorithm0E12hip_bfloat16EvPKT4_Pijj.has_recursion, 0
	.set _Z11rank_kernelILj193ELj2ELj4ELb1EL18RadixRankAlgorithm0E12hip_bfloat16EvPKT4_Pijj.has_indirect_call, 0
	.section	.AMDGPU.csdata,"",@progbits
; Kernel info:
; codeLenInByte = 1104
; TotalNumSgprs: 14
; NumVgprs: 19
; ScratchSize: 0
; MemoryBound: 0
; FloatMode: 240
; IeeeMode: 1
; LDSByteSize: 6192 bytes/workgroup (compile time only)
; SGPRBlocks: 1
; VGPRBlocks: 4
; NumSGPRsForWavesPerEU: 14
; NumVGPRsForWavesPerEU: 19
; Occupancy: 10
; WaveLimiterHint : 0
; COMPUTE_PGM_RSRC2:SCRATCH_EN: 0
; COMPUTE_PGM_RSRC2:USER_SGPR: 6
; COMPUTE_PGM_RSRC2:TRAP_HANDLER: 0
; COMPUTE_PGM_RSRC2:TGID_X_EN: 1
; COMPUTE_PGM_RSRC2:TGID_Y_EN: 0
; COMPUTE_PGM_RSRC2:TGID_Z_EN: 0
; COMPUTE_PGM_RSRC2:TIDIG_COMP_CNT: 0
	.section	.text._Z11rank_kernelILj193ELj2ELj4ELb1EL18RadixRankAlgorithm0E6__halfEvPKT4_Pijj,"axG",@progbits,_Z11rank_kernelILj193ELj2ELj4ELb1EL18RadixRankAlgorithm0E6__halfEvPKT4_Pijj,comdat
	.protected	_Z11rank_kernelILj193ELj2ELj4ELb1EL18RadixRankAlgorithm0E6__halfEvPKT4_Pijj ; -- Begin function _Z11rank_kernelILj193ELj2ELj4ELb1EL18RadixRankAlgorithm0E6__halfEvPKT4_Pijj
	.globl	_Z11rank_kernelILj193ELj2ELj4ELb1EL18RadixRankAlgorithm0E6__halfEvPKT4_Pijj
	.p2align	8
	.type	_Z11rank_kernelILj193ELj2ELj4ELb1EL18RadixRankAlgorithm0E6__halfEvPKT4_Pijj,@function
_Z11rank_kernelILj193ELj2ELj4ELb1EL18RadixRankAlgorithm0E6__halfEvPKT4_Pijj: ; @_Z11rank_kernelILj193ELj2ELj4ELb1EL18RadixRankAlgorithm0E6__halfEvPKT4_Pijj
; %bb.0:
	s_load_dwordx4 s[0:3], s[4:5], 0x0
	s_mulk_i32 s6, 0x182
	s_mov_b32 s7, 0
	s_lshl_b64 s[8:9], s[6:7], 1
	v_lshlrev_b32_e32 v5, 2, v0
	s_waitcnt lgkmcnt(0)
	s_add_u32 s0, s0, s8
	s_addc_u32 s1, s1, s9
	global_load_dword v3, v5, s[0:1]
	s_movk_i32 s0, 0x3c5
	v_mov_b32_e32 v1, 0
	v_cmp_gt_u32_e32 vcc, s0, v0
	ds_write2_b32 v5, v1, v1 offset1:193
	ds_write_b32 v5, v1 offset:1544
	s_and_saveexec_b64 s[0:1], vcc
	s_cbranch_execz .LBB1_6
; %bb.1:
	s_movk_i32 s8, 0x304
	v_cmp_gt_u32_e32 vcc, s8, v0
	ds_write_b32 v5, v1 offset:2316
	s_and_b64 exec, exec, vcc
	s_cbranch_execz .LBB1_6
; %bb.2:
	s_movk_i32 s8, 0x243
	v_mov_b32_e32 v1, 0
	v_cmp_gt_u32_e32 vcc, s8, v0
	ds_write_b32 v5, v1 offset:3088
	s_and_b64 exec, exec, vcc
	s_cbranch_execz .LBB1_6
; %bb.3:
	s_movk_i32 s8, 0x182
	v_cmp_gt_u32_e32 vcc, s8, v0
	ds_write_b32 v5, v1 offset:3860
	s_and_b64 exec, exec, vcc
	s_cbranch_execz .LBB1_6
; %bb.4:
	s_movk_i32 s8, 0xc1
	v_mov_b32_e32 v1, 0
	v_cmp_gt_u32_e32 vcc, s8, v0
	ds_write_b32 v5, v1 offset:4632
	s_and_b64 exec, exec, vcc
; %bb.5:
	ds_write_b32 v5, v1 offset:5404
.LBB1_6:
	s_or_b64 exec, exec, s[0:1]
	s_load_dwordx2 s[0:1], s[4:5], 0x10
	v_mov_b32_e32 v4, 0xffff8000
	s_waitcnt vmcnt(0)
	v_cmp_lt_i16_e32 vcc, -1, v3
	v_cndmask_b32_e32 v1, -1, v4, vcc
	v_xor_b32_e32 v1, v1, v3
	s_waitcnt lgkmcnt(0)
	s_and_b32 s1, s1, 31
	s_cmp_eq_u32 s1, 0
	s_cselect_b64 s[4:5], -1, 0
	s_and_b32 s0, s0, 31
	s_movk_i32 s8, 0x7fff
	s_add_i32 s0, s0, s1
	v_cmp_ne_u16_e32 vcc, s8, v1
	s_sub_i32 s0, 32, s0
	v_cndmask_b32_e32 v1, v4, v1, vcc
	s_sub_i32 s1, 32, s1
	v_lshlrev_b32_sdwa v1, s0, v1 dst_sel:DWORD dst_unused:UNUSED_PAD src0_sel:DWORD src1_sel:WORD_0
	v_bfe_u32 v1, v1, s1, 16
	v_mov_b32_e32 v6, -1
	v_xor_b32_e32 v1, 15, v1
	v_cmp_gt_i16_sdwa vcc, v3, v6 src0_sel:WORD_1 src1_sel:DWORD
	v_cndmask_b32_e64 v1, v1, 15, s[4:5]
	v_cndmask_b32_e32 v6, -1, v4, vcc
	v_and_b32_e32 v2, 7, v1
	s_movk_i32 s9, 0xc1
	v_lshrrev_b32_e32 v1, 2, v1
	v_xor_b32_sdwa v3, v6, v3 dst_sel:DWORD dst_unused:UNUSED_PAD src0_sel:DWORD src1_sel:WORD_1
	v_mad_u32_u24 v2, v2, s9, v0
	v_and_b32_e32 v1, 0x3ffe, v1
	v_cmp_ne_u16_e32 vcc, s8, v3
	v_lshl_add_u32 v2, v2, 2, v1
	v_cndmask_b32_e32 v3, v4, v3, vcc
	ds_read_u16 v1, v2
	v_lshlrev_b32_sdwa v3, s0, v3 dst_sel:DWORD dst_unused:UNUSED_PAD src0_sel:DWORD src1_sel:WORD_0
	v_bfe_u32 v3, v3, s1, 16
	v_xor_b32_e32 v3, 15, v3
	v_cndmask_b32_e64 v3, v3, 15, s[4:5]
	v_and_b32_e32 v4, 7, v3
	v_lshrrev_b32_e32 v3, 2, v3
	s_waitcnt lgkmcnt(0)
	v_add_u16_e32 v6, 1, v1
	v_mad_u32_u24 v4, v4, s9, v0
	v_and_b32_e32 v3, 0x3ffe, v3
	ds_write_b16 v2, v6
	v_lshl_add_u32 v4, v4, 2, v3
	ds_read_u16 v3, v4
	v_mad_u32_u24 v5, v0, 28, v5
	s_waitcnt lgkmcnt(0)
	v_add_u16_e32 v6, 1, v3
	ds_write_b16 v4, v6
	s_waitcnt lgkmcnt(0)
	s_barrier
	ds_read_b128 v[6:9], v5
	ds_read_b128 v[10:13], v5 offset:16
	s_waitcnt lgkmcnt(1)
	v_add_u32_e32 v6, v7, v6
	v_add3_u32 v6, v6, v8, v9
	s_waitcnt lgkmcnt(0)
	v_add3_u32 v6, v6, v10, v11
	v_add3_u32 v7, v6, v12, v13
	v_mbcnt_lo_u32_b32 v6, -1, 0
	v_mbcnt_hi_u32_b32 v6, -1, v6
	v_and_b32_e32 v8, 15, v6
	v_mov_b32_dpp v9, v7 row_shr:1 row_mask:0xf bank_mask:0xf
	v_cmp_ne_u32_e32 vcc, 0, v8
	v_cndmask_b32_e32 v9, 0, v9, vcc
	v_add_u32_e32 v7, v9, v7
	v_cmp_lt_u32_e32 vcc, 1, v8
	s_nop 0
	v_mov_b32_dpp v9, v7 row_shr:2 row_mask:0xf bank_mask:0xf
	v_cndmask_b32_e32 v9, 0, v9, vcc
	v_add_u32_e32 v7, v7, v9
	v_cmp_lt_u32_e32 vcc, 3, v8
	s_nop 0
	v_mov_b32_dpp v9, v7 row_shr:4 row_mask:0xf bank_mask:0xf
	;; [unrolled: 5-line block ×3, first 2 shown]
	v_cndmask_b32_e32 v8, 0, v9, vcc
	v_add_u32_e32 v7, v7, v8
	v_bfe_i32 v9, v6, 4, 1
	v_cmp_lt_u32_e32 vcc, 31, v6
	v_mov_b32_dpp v8, v7 row_bcast:15 row_mask:0xf bank_mask:0xf
	v_and_b32_e32 v8, v9, v8
	v_add_u32_e32 v7, v7, v8
	v_and_b32_e32 v9, 0xc0, v0
	v_min_u32_e32 v9, 0x81, v9
	v_mov_b32_dpp v8, v7 row_bcast:31 row_mask:0xf bank_mask:0xf
	v_cndmask_b32_e32 v8, 0, v8, vcc
	v_add_u32_e32 v8, v7, v8
	v_lshrrev_b32_e32 v7, 6, v0
	v_add_u32_e32 v9, 63, v9
	v_cmp_eq_u32_e32 vcc, v0, v9
	v_lshlrev_b32_e32 v9, 2, v7
	s_and_saveexec_b64 s[0:1], vcc
; %bb.7:
	ds_write_b32 v9, v8 offset:6176
; %bb.8:
	s_or_b64 exec, exec, s[0:1]
	v_lshlrev_b32_e32 v7, 1, v0
	v_cmp_gt_u32_e32 vcc, 4, v0
	s_waitcnt lgkmcnt(0)
	s_barrier
	s_and_saveexec_b64 s[0:1], vcc
	s_cbranch_execz .LBB1_10
; %bb.9:
	s_movk_i32 s4, 0xffe4
	v_mad_i32_i24 v10, v0, s4, v5
	ds_read_b32 v11, v10 offset:6176
	v_and_b32_e32 v12, 3, v6
	v_cmp_ne_u32_e32 vcc, 0, v12
	s_waitcnt lgkmcnt(0)
	v_mov_b32_dpp v13, v11 row_shr:1 row_mask:0xf bank_mask:0xf
	v_cndmask_b32_e32 v13, 0, v13, vcc
	v_add_u32_e32 v11, v13, v11
	v_cmp_lt_u32_e32 vcc, 1, v12
	s_nop 0
	v_mov_b32_dpp v13, v11 row_shr:2 row_mask:0xf bank_mask:0xf
	v_cndmask_b32_e32 v12, 0, v13, vcc
	v_add_u32_e32 v11, v11, v12
	ds_write_b32 v10, v11 offset:6176
.LBB1_10:
	s_or_b64 exec, exec, s[0:1]
	v_cmp_lt_u32_e32 vcc, 63, v0
	v_mov_b32_e32 v10, 0
	v_mov_b32_e32 v0, 0
	s_waitcnt lgkmcnt(0)
	s_barrier
	s_and_saveexec_b64 s[0:1], vcc
; %bb.11:
	ds_read_b32 v0, v9 offset:6172
; %bb.12:
	s_or_b64 exec, exec, s[0:1]
	v_subrev_co_u32_e32 v9, vcc, 1, v6
	v_and_b32_e32 v11, 64, v6
	v_cmp_lt_i32_e64 s[0:1], v9, v11
	v_cndmask_b32_e64 v6, v9, v6, s[0:1]
	s_waitcnt lgkmcnt(0)
	v_add_u32_e32 v8, v0, v8
	v_lshlrev_b32_e32 v6, 2, v6
	ds_bpermute_b32 v6, v6, v8
	ds_read_b32 v12, v10 offset:6188
	ds_read_b128 v[8:11], v5
	ds_read_b96 v[16:18], v5 offset:16
	s_lshl_b64 s[0:1], s[6:7], 2
	s_add_u32 s0, s2, s0
	s_waitcnt lgkmcnt(3)
	v_cndmask_b32_e32 v0, v6, v0, vcc
	s_waitcnt lgkmcnt(2)
	v_lshl_add_u32 v12, v12, 16, v0
	s_waitcnt lgkmcnt(1)
	v_add_u32_e32 v13, v12, v8
	v_add_u32_e32 v14, v9, v13
	;; [unrolled: 1-line block ×4, first 2 shown]
	s_waitcnt lgkmcnt(0)
	v_add_u32_e32 v9, v16, v8
	v_add_u32_e32 v10, v17, v9
	;; [unrolled: 1-line block ×3, first 2 shown]
	ds_write_b128 v5, v[12:15]
	ds_write_b128 v5, v[8:11] offset:16
	s_waitcnt lgkmcnt(0)
	s_barrier
	ds_read_u16 v0, v2
	ds_read_u16 v2, v4
	s_addc_u32 s1, s3, s1
	s_waitcnt lgkmcnt(1)
	v_add_u32_sdwa v0, v0, v1 dst_sel:DWORD dst_unused:UNUSED_PAD src0_sel:DWORD src1_sel:WORD_0
	s_waitcnt lgkmcnt(0)
	v_add_u32_sdwa v1, v2, v3 dst_sel:DWORD dst_unused:UNUSED_PAD src0_sel:DWORD src1_sel:WORD_0
	v_lshlrev_b32_e32 v2, 2, v7
	global_store_dwordx2 v2, v[0:1], s[0:1]
	s_endpgm
	.section	.rodata,"a",@progbits
	.p2align	6, 0x0
	.amdhsa_kernel _Z11rank_kernelILj193ELj2ELj4ELb1EL18RadixRankAlgorithm0E6__halfEvPKT4_Pijj
		.amdhsa_group_segment_fixed_size 6192
		.amdhsa_private_segment_fixed_size 0
		.amdhsa_kernarg_size 24
		.amdhsa_user_sgpr_count 6
		.amdhsa_user_sgpr_private_segment_buffer 1
		.amdhsa_user_sgpr_dispatch_ptr 0
		.amdhsa_user_sgpr_queue_ptr 0
		.amdhsa_user_sgpr_kernarg_segment_ptr 1
		.amdhsa_user_sgpr_dispatch_id 0
		.amdhsa_user_sgpr_flat_scratch_init 0
		.amdhsa_user_sgpr_private_segment_size 0
		.amdhsa_uses_dynamic_stack 0
		.amdhsa_system_sgpr_private_segment_wavefront_offset 0
		.amdhsa_system_sgpr_workgroup_id_x 1
		.amdhsa_system_sgpr_workgroup_id_y 0
		.amdhsa_system_sgpr_workgroup_id_z 0
		.amdhsa_system_sgpr_workgroup_info 0
		.amdhsa_system_vgpr_workitem_id 0
		.amdhsa_next_free_vgpr 19
		.amdhsa_next_free_sgpr 10
		.amdhsa_reserve_vcc 1
		.amdhsa_reserve_flat_scratch 0
		.amdhsa_float_round_mode_32 0
		.amdhsa_float_round_mode_16_64 0
		.amdhsa_float_denorm_mode_32 3
		.amdhsa_float_denorm_mode_16_64 3
		.amdhsa_dx10_clamp 1
		.amdhsa_ieee_mode 1
		.amdhsa_fp16_overflow 0
		.amdhsa_exception_fp_ieee_invalid_op 0
		.amdhsa_exception_fp_denorm_src 0
		.amdhsa_exception_fp_ieee_div_zero 0
		.amdhsa_exception_fp_ieee_overflow 0
		.amdhsa_exception_fp_ieee_underflow 0
		.amdhsa_exception_fp_ieee_inexact 0
		.amdhsa_exception_int_div_zero 0
	.end_amdhsa_kernel
	.section	.text._Z11rank_kernelILj193ELj2ELj4ELb1EL18RadixRankAlgorithm0E6__halfEvPKT4_Pijj,"axG",@progbits,_Z11rank_kernelILj193ELj2ELj4ELb1EL18RadixRankAlgorithm0E6__halfEvPKT4_Pijj,comdat
.Lfunc_end1:
	.size	_Z11rank_kernelILj193ELj2ELj4ELb1EL18RadixRankAlgorithm0E6__halfEvPKT4_Pijj, .Lfunc_end1-_Z11rank_kernelILj193ELj2ELj4ELb1EL18RadixRankAlgorithm0E6__halfEvPKT4_Pijj
                                        ; -- End function
	.set _Z11rank_kernelILj193ELj2ELj4ELb1EL18RadixRankAlgorithm0E6__halfEvPKT4_Pijj.num_vgpr, 19
	.set _Z11rank_kernelILj193ELj2ELj4ELb1EL18RadixRankAlgorithm0E6__halfEvPKT4_Pijj.num_agpr, 0
	.set _Z11rank_kernelILj193ELj2ELj4ELb1EL18RadixRankAlgorithm0E6__halfEvPKT4_Pijj.numbered_sgpr, 10
	.set _Z11rank_kernelILj193ELj2ELj4ELb1EL18RadixRankAlgorithm0E6__halfEvPKT4_Pijj.num_named_barrier, 0
	.set _Z11rank_kernelILj193ELj2ELj4ELb1EL18RadixRankAlgorithm0E6__halfEvPKT4_Pijj.private_seg_size, 0
	.set _Z11rank_kernelILj193ELj2ELj4ELb1EL18RadixRankAlgorithm0E6__halfEvPKT4_Pijj.uses_vcc, 1
	.set _Z11rank_kernelILj193ELj2ELj4ELb1EL18RadixRankAlgorithm0E6__halfEvPKT4_Pijj.uses_flat_scratch, 0
	.set _Z11rank_kernelILj193ELj2ELj4ELb1EL18RadixRankAlgorithm0E6__halfEvPKT4_Pijj.has_dyn_sized_stack, 0
	.set _Z11rank_kernelILj193ELj2ELj4ELb1EL18RadixRankAlgorithm0E6__halfEvPKT4_Pijj.has_recursion, 0
	.set _Z11rank_kernelILj193ELj2ELj4ELb1EL18RadixRankAlgorithm0E6__halfEvPKT4_Pijj.has_indirect_call, 0
	.section	.AMDGPU.csdata,"",@progbits
; Kernel info:
; codeLenInByte = 1104
; TotalNumSgprs: 14
; NumVgprs: 19
; ScratchSize: 0
; MemoryBound: 0
; FloatMode: 240
; IeeeMode: 1
; LDSByteSize: 6192 bytes/workgroup (compile time only)
; SGPRBlocks: 1
; VGPRBlocks: 4
; NumSGPRsForWavesPerEU: 14
; NumVGPRsForWavesPerEU: 19
; Occupancy: 10
; WaveLimiterHint : 0
; COMPUTE_PGM_RSRC2:SCRATCH_EN: 0
; COMPUTE_PGM_RSRC2:USER_SGPR: 6
; COMPUTE_PGM_RSRC2:TRAP_HANDLER: 0
; COMPUTE_PGM_RSRC2:TGID_X_EN: 1
; COMPUTE_PGM_RSRC2:TGID_Y_EN: 0
; COMPUTE_PGM_RSRC2:TGID_Z_EN: 0
; COMPUTE_PGM_RSRC2:TIDIG_COMP_CNT: 0
	.section	.text._Z11rank_kernelILj162ELj2ELj6ELb1EL18RadixRankAlgorithm0EjEvPKT4_Pijj,"axG",@progbits,_Z11rank_kernelILj162ELj2ELj6ELb1EL18RadixRankAlgorithm0EjEvPKT4_Pijj,comdat
	.protected	_Z11rank_kernelILj162ELj2ELj6ELb1EL18RadixRankAlgorithm0EjEvPKT4_Pijj ; -- Begin function _Z11rank_kernelILj162ELj2ELj6ELb1EL18RadixRankAlgorithm0EjEvPKT4_Pijj
	.globl	_Z11rank_kernelILj162ELj2ELj6ELb1EL18RadixRankAlgorithm0EjEvPKT4_Pijj
	.p2align	8
	.type	_Z11rank_kernelILj162ELj2ELj6ELb1EL18RadixRankAlgorithm0EjEvPKT4_Pijj,@function
_Z11rank_kernelILj162ELj2ELj6ELb1EL18RadixRankAlgorithm0EjEvPKT4_Pijj: ; @_Z11rank_kernelILj162ELj2ELj6ELb1EL18RadixRankAlgorithm0EjEvPKT4_Pijj
; %bb.0:
	s_load_dwordx4 s[0:3], s[4:5], 0x0
	s_mulk_i32 s6, 0x144
	s_mov_b32 s7, 0
	s_lshl_b64 s[6:7], s[6:7], 2
	v_lshlrev_b32_e32 v1, 3, v0
	s_waitcnt lgkmcnt(0)
	s_add_u32 s0, s0, s6
	s_addc_u32 s1, s1, s7
	global_load_dwordx2 v[1:2], v1, s[0:1]
	v_lshlrev_b32_e32 v3, 1, v0
	v_mov_b32_e32 v4, 0
	v_lshlrev_b32_e32 v5, 2, v0
	v_add_u32_e32 v6, 0xffffff5e, v0
	s_mov_b64 s[0:1], 0
	s_movk_i32 s8, 0x139d
.LBB2_1:                                ; =>This Inner Loop Header: Depth=1
	v_add_u32_e32 v6, 0xa2, v6
	v_cmp_lt_u32_e32 vcc, s8, v6
	ds_write_b32 v5, v4
	s_or_b64 s[0:1], vcc, s[0:1]
	v_add_u32_e32 v5, 0x288, v5
	s_andn2_b64 exec, exec, s[0:1]
	s_cbranch_execnz .LBB2_1
; %bb.2:
	s_or_b64 exec, exec, s[0:1]
	s_load_dwordx2 s[0:1], s[4:5], 0x10
	s_movk_i32 s8, 0xa2
	s_waitcnt lgkmcnt(0)
	s_and_b32 s1, s1, 31
	s_cmp_eq_u32 s1, 0
	s_cselect_b64 s[4:5], -1, 0
	s_and_b32 s0, s0, 31
	s_add_i32 s0, s0, s1
	s_sub_i32 s0, 32, s0
	s_sub_i32 s9, 32, s1
	s_waitcnt vmcnt(0)
	v_lshlrev_b32_e32 v1, s0, v1
	v_lshrrev_b32_e32 v1, s9, v1
	v_xor_b32_e32 v1, 63, v1
	v_cndmask_b32_e64 v1, v1, 63, s[4:5]
	v_and_b32_e32 v4, 31, v1
	v_lshrrev_b32_e32 v1, 4, v1
	v_mad_u32_u24 v4, v4, s8, v0
	v_and_b32_e32 v1, 0xffffffe, v1
	v_lshl_add_u32 v4, v4, 2, v1
	ds_read_u16 v1, v4
	v_lshlrev_b32_e32 v2, s0, v2
	v_lshrrev_b32_e32 v2, s9, v2
	v_xor_b32_e32 v2, 63, v2
	v_cndmask_b32_e64 v2, v2, 63, s[4:5]
	s_waitcnt lgkmcnt(0)
	v_add_u16_e32 v5, 1, v1
	ds_write_b16 v4, v5
	v_and_b32_e32 v5, 31, v2
	v_lshrrev_b32_e32 v2, 4, v2
	v_mad_u32_u24 v5, v5, s8, v0
	v_and_b32_e32 v2, 0xffffffe, v2
	v_lshl_add_u32 v5, v5, 2, v2
	ds_read_u16 v2, v5
	s_waitcnt lgkmcnt(0)
	v_add_u16_e32 v6, 1, v2
	ds_write_b16 v5, v6
	v_lshlrev_b32_e32 v6, 7, v0
	s_waitcnt lgkmcnt(0)
	s_barrier
	ds_read_b128 v[7:10], v6
	ds_read_b128 v[11:14], v6 offset:16
	ds_read_b128 v[15:18], v6 offset:32
	;; [unrolled: 1-line block ×3, first 2 shown]
	s_waitcnt lgkmcnt(3)
	v_add_u32_e32 v7, v8, v7
	v_add3_u32 v7, v7, v9, v10
	s_waitcnt lgkmcnt(2)
	v_add3_u32 v7, v7, v11, v12
	v_add3_u32 v7, v7, v13, v14
	s_waitcnt lgkmcnt(1)
	v_add3_u32 v11, v7, v15, v16
	ds_read_b128 v[7:10], v6 offset:64
	v_add3_u32 v11, v11, v17, v18
	s_waitcnt lgkmcnt(1)
	v_add3_u32 v11, v11, v19, v20
	v_add3_u32 v15, v11, v21, v22
	ds_read_b128 v[11:14], v6 offset:80
	s_waitcnt lgkmcnt(1)
	v_add3_u32 v7, v15, v7, v8
	ds_read_b128 v[15:18], v6 offset:96
	v_add3_u32 v19, v7, v9, v10
	ds_read_b128 v[7:10], v6 offset:112
	s_waitcnt lgkmcnt(2)
	v_add3_u32 v11, v19, v11, v12
	v_add3_u32 v11, v11, v13, v14
	s_waitcnt lgkmcnt(1)
	v_add3_u32 v11, v11, v15, v16
	v_add3_u32 v11, v11, v17, v18
	;; [unrolled: 3-line block ×3, first 2 shown]
	v_mbcnt_lo_u32_b32 v7, -1, 0
	v_mbcnt_hi_u32_b32 v7, -1, v7
	v_and_b32_e32 v9, 15, v7
	v_mov_b32_dpp v10, v8 row_shr:1 row_mask:0xf bank_mask:0xf
	v_cmp_ne_u32_e32 vcc, 0, v9
	v_cndmask_b32_e32 v10, 0, v10, vcc
	v_add_u32_e32 v8, v10, v8
	v_cmp_lt_u32_e32 vcc, 1, v9
	s_nop 0
	v_mov_b32_dpp v10, v8 row_shr:2 row_mask:0xf bank_mask:0xf
	v_cndmask_b32_e32 v10, 0, v10, vcc
	v_add_u32_e32 v8, v8, v10
	v_cmp_lt_u32_e32 vcc, 3, v9
	s_nop 0
	v_mov_b32_dpp v10, v8 row_shr:4 row_mask:0xf bank_mask:0xf
	;; [unrolled: 5-line block ×3, first 2 shown]
	v_cndmask_b32_e32 v9, 0, v10, vcc
	v_add_u32_e32 v8, v8, v9
	v_bfe_i32 v10, v7, 4, 1
	v_cmp_lt_u32_e32 vcc, 31, v7
	v_mov_b32_dpp v9, v8 row_bcast:15 row_mask:0xf bank_mask:0xf
	v_and_b32_e32 v9, v10, v9
	v_add_u32_e32 v8, v8, v9
	v_and_b32_e32 v10, 0xc0, v0
	v_min_u32_e32 v10, 0x62, v10
	v_mov_b32_dpp v9, v8 row_bcast:31 row_mask:0xf bank_mask:0xf
	v_cndmask_b32_e32 v9, 0, v9, vcc
	v_add_u32_e32 v8, v8, v9
	v_lshrrev_b32_e32 v9, 6, v0
	v_add_u32_e32 v10, 63, v10
	v_cmp_eq_u32_e32 vcc, v0, v10
	v_lshlrev_b32_e32 v9, 2, v9
	s_and_saveexec_b64 s[0:1], vcc
; %bb.3:
	ds_write_b32 v9, v8 offset:20736
; %bb.4:
	s_or_b64 exec, exec, s[0:1]
	v_cmp_gt_u32_e32 vcc, 3, v0
	s_waitcnt lgkmcnt(0)
	s_barrier
	s_and_saveexec_b64 s[0:1], vcc
	s_cbranch_execz .LBB2_6
; %bb.5:
	v_lshlrev_b32_e32 v10, 2, v0
	ds_read_b32 v11, v10 offset:20736
	v_and_b32_e32 v12, 3, v7
	v_cmp_ne_u32_e32 vcc, 0, v12
	s_waitcnt lgkmcnt(0)
	v_mov_b32_dpp v13, v11 row_shr:1 row_mask:0xf bank_mask:0xf
	v_cndmask_b32_e32 v13, 0, v13, vcc
	v_add_u32_e32 v11, v13, v11
	v_cmp_lt_u32_e32 vcc, 1, v12
	s_nop 0
	v_mov_b32_dpp v13, v11 row_shr:2 row_mask:0xf bank_mask:0xf
	v_cndmask_b32_e32 v12, 0, v13, vcc
	v_add_u32_e32 v11, v11, v12
	ds_write_b32 v10, v11 offset:20736
.LBB2_6:
	s_or_b64 exec, exec, s[0:1]
	v_cmp_lt_u32_e32 vcc, 63, v0
	v_mov_b32_e32 v0, 0
	v_mov_b32_e32 v10, 0
	s_waitcnt lgkmcnt(0)
	s_barrier
	s_and_saveexec_b64 s[0:1], vcc
; %bb.7:
	ds_read_b32 v10, v9 offset:20732
; %bb.8:
	s_or_b64 exec, exec, s[0:1]
	v_subrev_co_u32_e32 v9, vcc, 1, v7
	v_and_b32_e32 v11, 64, v7
	v_cmp_lt_i32_e64 s[0:1], v9, v11
	v_cndmask_b32_e64 v7, v9, v7, s[0:1]
	s_waitcnt lgkmcnt(0)
	v_add_u32_e32 v8, v10, v8
	v_lshlrev_b32_e32 v7, 2, v7
	ds_bpermute_b32 v7, v7, v8
	ds_read_b32 v0, v0 offset:20744
	s_add_u32 s0, s2, s6
	s_addc_u32 s1, s3, s7
	s_waitcnt lgkmcnt(1)
	v_cndmask_b32_e32 v11, v7, v10, vcc
	ds_read_b128 v[7:10], v6
	s_waitcnt lgkmcnt(1)
	v_lshl_add_u32 v11, v0, 16, v11
	ds_read_b128 v[15:18], v6 offset:16
	ds_read_b128 v[19:22], v6 offset:32
	;; [unrolled: 1-line block ×3, first 2 shown]
	s_waitcnt lgkmcnt(3)
	v_add_u32_e32 v12, v11, v7
	v_add_u32_e32 v13, v8, v12
	;; [unrolled: 1-line block ×4, first 2 shown]
	s_waitcnt lgkmcnt(2)
	v_add_u32_e32 v8, v15, v7
	v_add_u32_e32 v9, v16, v8
	;; [unrolled: 1-line block ×3, first 2 shown]
	ds_write_b128 v6, v[7:10] offset:16
	v_add_u32_e32 v7, v18, v10
	s_waitcnt lgkmcnt(2)
	v_add_u32_e32 v8, v19, v7
	v_add_u32_e32 v9, v20, v8
	;; [unrolled: 1-line block ×3, first 2 shown]
	ds_write_b128 v6, v[11:14]
	ds_write_b128 v6, v[7:10] offset:32
	v_add_u32_e32 v7, v22, v10
	ds_read_b128 v[11:14], v6 offset:64
	ds_read_b128 v[15:18], v6 offset:80
	s_waitcnt lgkmcnt(5)
	v_add_u32_e32 v8, v23, v7
	v_add_u32_e32 v9, v24, v8
	;; [unrolled: 1-line block ×3, first 2 shown]
	ds_write_b128 v6, v[7:10] offset:48
	v_add_u32_e32 v7, v26, v10
	s_waitcnt lgkmcnt(2)
	v_add_u32_e32 v8, v11, v7
	v_add_u32_e32 v9, v12, v8
	;; [unrolled: 1-line block ×3, first 2 shown]
	ds_write_b128 v6, v[7:10] offset:64
	v_add_u32_e32 v7, v14, v10
	ds_read_b128 v[11:14], v6 offset:96
	s_waitcnt lgkmcnt(3)
	v_add_u32_e32 v8, v15, v7
	v_add_u32_e32 v9, v16, v8
	;; [unrolled: 1-line block ×3, first 2 shown]
	ds_write_b128 v6, v[7:10] offset:80
	v_add_u32_e32 v7, v18, v10
	ds_read_b96 v[15:17], v6 offset:112
	s_waitcnt lgkmcnt(2)
	v_add_u32_e32 v8, v11, v7
	v_add_u32_e32 v9, v12, v8
	;; [unrolled: 1-line block ×3, first 2 shown]
	ds_write_b128 v6, v[7:10] offset:96
	v_add_u32_e32 v7, v14, v10
	s_waitcnt lgkmcnt(1)
	v_add_u32_e32 v8, v15, v7
	v_add_u32_e32 v9, v16, v8
	;; [unrolled: 1-line block ×3, first 2 shown]
	ds_write_b128 v6, v[7:10] offset:112
	s_waitcnt lgkmcnt(0)
	s_barrier
	ds_read_u16 v0, v4
	ds_read_u16 v4, v5
	s_waitcnt lgkmcnt(1)
	v_add_u32_sdwa v0, v0, v1 dst_sel:DWORD dst_unused:UNUSED_PAD src0_sel:DWORD src1_sel:WORD_0
	s_waitcnt lgkmcnt(0)
	v_add_u32_sdwa v1, v4, v2 dst_sel:DWORD dst_unused:UNUSED_PAD src0_sel:DWORD src1_sel:WORD_0
	v_lshlrev_b32_e32 v2, 2, v3
	global_store_dwordx2 v2, v[0:1], s[0:1]
	s_endpgm
	.section	.rodata,"a",@progbits
	.p2align	6, 0x0
	.amdhsa_kernel _Z11rank_kernelILj162ELj2ELj6ELb1EL18RadixRankAlgorithm0EjEvPKT4_Pijj
		.amdhsa_group_segment_fixed_size 20752
		.amdhsa_private_segment_fixed_size 0
		.amdhsa_kernarg_size 24
		.amdhsa_user_sgpr_count 6
		.amdhsa_user_sgpr_private_segment_buffer 1
		.amdhsa_user_sgpr_dispatch_ptr 0
		.amdhsa_user_sgpr_queue_ptr 0
		.amdhsa_user_sgpr_kernarg_segment_ptr 1
		.amdhsa_user_sgpr_dispatch_id 0
		.amdhsa_user_sgpr_flat_scratch_init 0
		.amdhsa_user_sgpr_private_segment_size 0
		.amdhsa_uses_dynamic_stack 0
		.amdhsa_system_sgpr_private_segment_wavefront_offset 0
		.amdhsa_system_sgpr_workgroup_id_x 1
		.amdhsa_system_sgpr_workgroup_id_y 0
		.amdhsa_system_sgpr_workgroup_id_z 0
		.amdhsa_system_sgpr_workgroup_info 0
		.amdhsa_system_vgpr_workitem_id 0
		.amdhsa_next_free_vgpr 65
		.amdhsa_next_free_sgpr 98
		.amdhsa_reserve_vcc 1
		.amdhsa_reserve_flat_scratch 0
		.amdhsa_float_round_mode_32 0
		.amdhsa_float_round_mode_16_64 0
		.amdhsa_float_denorm_mode_32 3
		.amdhsa_float_denorm_mode_16_64 3
		.amdhsa_dx10_clamp 1
		.amdhsa_ieee_mode 1
		.amdhsa_fp16_overflow 0
		.amdhsa_exception_fp_ieee_invalid_op 0
		.amdhsa_exception_fp_denorm_src 0
		.amdhsa_exception_fp_ieee_div_zero 0
		.amdhsa_exception_fp_ieee_overflow 0
		.amdhsa_exception_fp_ieee_underflow 0
		.amdhsa_exception_fp_ieee_inexact 0
		.amdhsa_exception_int_div_zero 0
	.end_amdhsa_kernel
	.section	.text._Z11rank_kernelILj162ELj2ELj6ELb1EL18RadixRankAlgorithm0EjEvPKT4_Pijj,"axG",@progbits,_Z11rank_kernelILj162ELj2ELj6ELb1EL18RadixRankAlgorithm0EjEvPKT4_Pijj,comdat
.Lfunc_end2:
	.size	_Z11rank_kernelILj162ELj2ELj6ELb1EL18RadixRankAlgorithm0EjEvPKT4_Pijj, .Lfunc_end2-_Z11rank_kernelILj162ELj2ELj6ELb1EL18RadixRankAlgorithm0EjEvPKT4_Pijj
                                        ; -- End function
	.set _Z11rank_kernelILj162ELj2ELj6ELb1EL18RadixRankAlgorithm0EjEvPKT4_Pijj.num_vgpr, 27
	.set _Z11rank_kernelILj162ELj2ELj6ELb1EL18RadixRankAlgorithm0EjEvPKT4_Pijj.num_agpr, 0
	.set _Z11rank_kernelILj162ELj2ELj6ELb1EL18RadixRankAlgorithm0EjEvPKT4_Pijj.numbered_sgpr, 10
	.set _Z11rank_kernelILj162ELj2ELj6ELb1EL18RadixRankAlgorithm0EjEvPKT4_Pijj.num_named_barrier, 0
	.set _Z11rank_kernelILj162ELj2ELj6ELb1EL18RadixRankAlgorithm0EjEvPKT4_Pijj.private_seg_size, 0
	.set _Z11rank_kernelILj162ELj2ELj6ELb1EL18RadixRankAlgorithm0EjEvPKT4_Pijj.uses_vcc, 1
	.set _Z11rank_kernelILj162ELj2ELj6ELb1EL18RadixRankAlgorithm0EjEvPKT4_Pijj.uses_flat_scratch, 0
	.set _Z11rank_kernelILj162ELj2ELj6ELb1EL18RadixRankAlgorithm0EjEvPKT4_Pijj.has_dyn_sized_stack, 0
	.set _Z11rank_kernelILj162ELj2ELj6ELb1EL18RadixRankAlgorithm0EjEvPKT4_Pijj.has_recursion, 0
	.set _Z11rank_kernelILj162ELj2ELj6ELb1EL18RadixRankAlgorithm0EjEvPKT4_Pijj.has_indirect_call, 0
	.section	.AMDGPU.csdata,"",@progbits
; Kernel info:
; codeLenInByte = 1312
; TotalNumSgprs: 14
; NumVgprs: 27
; ScratchSize: 0
; MemoryBound: 0
; FloatMode: 240
; IeeeMode: 1
; LDSByteSize: 20752 bytes/workgroup (compile time only)
; SGPRBlocks: 12
; VGPRBlocks: 16
; NumSGPRsForWavesPerEU: 102
; NumVGPRsForWavesPerEU: 65
; Occupancy: 3
; WaveLimiterHint : 0
; COMPUTE_PGM_RSRC2:SCRATCH_EN: 0
; COMPUTE_PGM_RSRC2:USER_SGPR: 6
; COMPUTE_PGM_RSRC2:TRAP_HANDLER: 0
; COMPUTE_PGM_RSRC2:TGID_X_EN: 1
; COMPUTE_PGM_RSRC2:TGID_Y_EN: 0
; COMPUTE_PGM_RSRC2:TGID_Z_EN: 0
; COMPUTE_PGM_RSRC2:TIDIG_COMP_CNT: 0
	.section	.text._Z11rank_kernelILj60ELj1ELj3ELb1EL18RadixRankAlgorithm0EfEvPKT4_Pijj,"axG",@progbits,_Z11rank_kernelILj60ELj1ELj3ELb1EL18RadixRankAlgorithm0EfEvPKT4_Pijj,comdat
	.protected	_Z11rank_kernelILj60ELj1ELj3ELb1EL18RadixRankAlgorithm0EfEvPKT4_Pijj ; -- Begin function _Z11rank_kernelILj60ELj1ELj3ELb1EL18RadixRankAlgorithm0EfEvPKT4_Pijj
	.globl	_Z11rank_kernelILj60ELj1ELj3ELb1EL18RadixRankAlgorithm0EfEvPKT4_Pijj
	.p2align	8
	.type	_Z11rank_kernelILj60ELj1ELj3ELb1EL18RadixRankAlgorithm0EfEvPKT4_Pijj,@function
_Z11rank_kernelILj60ELj1ELj3ELb1EL18RadixRankAlgorithm0EfEvPKT4_Pijj: ; @_Z11rank_kernelILj60ELj1ELj3ELb1EL18RadixRankAlgorithm0EfEvPKT4_Pijj
; %bb.0:
	s_load_dwordx4 s[0:3], s[4:5], 0x0
	s_mul_i32 s6, s6, 60
	s_mov_b32 s7, 0
	s_lshl_b64 s[6:7], s[6:7], 2
	v_lshlrev_b32_e32 v1, 2, v0
	s_waitcnt lgkmcnt(0)
	s_add_u32 s0, s0, s6
	s_addc_u32 s1, s1, s7
	global_load_dword v2, v1, s[0:1]
	s_movk_i32 s0, 0xf0
	v_mov_b32_e32 v3, 0
	v_cmp_gt_u32_e32 vcc, s0, v0
	s_and_saveexec_b64 s[0:1], vcc
	s_cbranch_execz .LBB3_3
; %bb.1:
	v_subrev_u32_e32 v4, 60, v0
	s_mov_b64 s[8:9], 0
	s_movk_i32 s10, 0xb3
	v_mov_b32_e32 v5, v1
.LBB3_2:                                ; =>This Inner Loop Header: Depth=1
	v_add_u32_e32 v4, 60, v4
	v_cmp_lt_u32_e32 vcc, s10, v4
	ds_write_b32 v5, v3
	s_or_b64 s[8:9], vcc, s[8:9]
	v_add_u32_e32 v5, 0xf0, v5
	s_andn2_b64 exec, exec, s[8:9]
	s_cbranch_execnz .LBB3_2
.LBB3_3:
	s_or_b64 exec, exec, s[0:1]
	s_load_dwordx2 s[0:1], s[4:5], 0x10
	v_bfrev_b32_e32 v3, 1
	s_waitcnt vmcnt(0)
	v_cmp_lt_i32_e32 vcc, -1, v2
	v_cndmask_b32_e32 v4, -1, v3, vcc
	v_xor_b32_e32 v2, v4, v2
	s_brev_b32 s4, -2
	s_waitcnt lgkmcnt(0)
	s_and_b32 s1, s1, 31
	s_and_b32 s0, s0, 31
	v_cmp_ne_u32_e32 vcc, s4, v2
	s_add_i32 s0, s0, s1
	v_cndmask_b32_e32 v2, v3, v2, vcc
	s_sub_i32 s0, 32, s0
	v_lshlrev_b32_e32 v2, s0, v2
	s_sub_i32 s0, 32, s1
	v_lshrrev_b32_e32 v2, s0, v2
	s_cmp_lg_u32 s1, 0
	v_xor_b32_e32 v2, 7, v2
	s_cselect_b64 vcc, -1, 0
	v_cndmask_b32_e32 v2, 7, v2, vcc
	v_and_b32_e32 v3, 3, v2
	v_lshrrev_b32_e32 v2, 1, v2
	v_mad_u32_u24 v3, v3, 60, v0
	v_and_b32_e32 v2, 0x7ffffffe, v2
	v_lshl_add_u32 v2, v3, 2, v2
	ds_read_u16 v3, v2
	s_waitcnt lgkmcnt(0)
	v_add_u16_e32 v4, 1, v3
	ds_write_b16 v2, v4
	v_lshlrev_b32_e32 v4, 4, v0
	s_waitcnt lgkmcnt(0)
	; wave barrier
	ds_read_b128 v[5:8], v4
	s_waitcnt lgkmcnt(0)
	v_add_u32_e32 v5, v6, v5
	v_add3_u32 v6, v5, v7, v8
	v_mbcnt_lo_u32_b32 v5, -1, 0
	v_mbcnt_hi_u32_b32 v5, -1, v5
	v_and_b32_e32 v7, 15, v5
	v_mov_b32_dpp v8, v6 row_shr:1 row_mask:0xf bank_mask:0xf
	v_cmp_ne_u32_e32 vcc, 0, v7
	v_cndmask_b32_e32 v8, 0, v8, vcc
	v_add_u32_e32 v6, v8, v6
	v_cmp_lt_u32_e32 vcc, 1, v7
	s_nop 0
	v_mov_b32_dpp v8, v6 row_shr:2 row_mask:0xf bank_mask:0xf
	v_cndmask_b32_e32 v8, 0, v8, vcc
	v_add_u32_e32 v6, v6, v8
	v_cmp_lt_u32_e32 vcc, 3, v7
	s_nop 0
	v_mov_b32_dpp v8, v6 row_shr:4 row_mask:0xf bank_mask:0xf
	;; [unrolled: 5-line block ×3, first 2 shown]
	v_cndmask_b32_e32 v7, 0, v8, vcc
	v_add_u32_e32 v6, v6, v7
	v_bfe_i32 v8, v5, 4, 1
	v_cmp_lt_u32_e32 vcc, 31, v5
	v_mov_b32_dpp v7, v6 row_bcast:15 row_mask:0xf bank_mask:0xf
	v_and_b32_e32 v7, v8, v7
	v_add_u32_e32 v6, v6, v7
	s_nop 1
	v_mov_b32_dpp v7, v6 row_bcast:31 row_mask:0xf bank_mask:0xf
	v_cndmask_b32_e32 v7, 0, v7, vcc
	v_add_u32_e32 v6, v6, v7
	v_cmp_eq_u32_e32 vcc, 59, v0
	s_and_saveexec_b64 s[0:1], vcc
; %bb.4:
	v_mov_b32_e32 v0, 0
	ds_write_b32 v0, v6 offset:960
; %bb.5:
	s_or_b64 exec, exec, s[0:1]
	v_subrev_co_u32_e32 v0, vcc, 1, v5
	v_and_b32_e32 v7, 64, v5
	v_cmp_lt_i32_e64 s[0:1], v0, v7
	v_cndmask_b32_e64 v0, v0, v5, s[0:1]
	v_lshlrev_b32_e32 v0, 2, v0
	ds_bpermute_b32 v0, v0, v6
	v_mov_b32_e32 v5, 0
	s_waitcnt lgkmcnt(0)
	; wave barrier
	ds_read_b32 v5, v5 offset:960
	ds_read_b96 v[6:8], v4
	v_cndmask_b32_e64 v0, v0, 0, vcc
	s_add_u32 s0, s2, s6
	s_addc_u32 s1, s3, s7
	s_waitcnt lgkmcnt(1)
	v_lshl_add_u32 v5, v5, 16, v0
	s_waitcnt lgkmcnt(0)
	v_add_u32_e32 v6, v5, v6
	v_add_u32_e32 v7, v7, v6
	;; [unrolled: 1-line block ×3, first 2 shown]
	ds_write_b128 v4, v[5:8]
	s_waitcnt lgkmcnt(0)
	; wave barrier
	ds_read_u16 v0, v2
	s_waitcnt lgkmcnt(0)
	v_add_u32_sdwa v0, v0, v3 dst_sel:DWORD dst_unused:UNUSED_PAD src0_sel:DWORD src1_sel:WORD_0
	global_store_dword v1, v0, s[0:1]
	s_endpgm
	.section	.rodata,"a",@progbits
	.p2align	6, 0x0
	.amdhsa_kernel _Z11rank_kernelILj60ELj1ELj3ELb1EL18RadixRankAlgorithm0EfEvPKT4_Pijj
		.amdhsa_group_segment_fixed_size 976
		.amdhsa_private_segment_fixed_size 0
		.amdhsa_kernarg_size 24
		.amdhsa_user_sgpr_count 6
		.amdhsa_user_sgpr_private_segment_buffer 1
		.amdhsa_user_sgpr_dispatch_ptr 0
		.amdhsa_user_sgpr_queue_ptr 0
		.amdhsa_user_sgpr_kernarg_segment_ptr 1
		.amdhsa_user_sgpr_dispatch_id 0
		.amdhsa_user_sgpr_flat_scratch_init 0
		.amdhsa_user_sgpr_private_segment_size 0
		.amdhsa_uses_dynamic_stack 0
		.amdhsa_system_sgpr_private_segment_wavefront_offset 0
		.amdhsa_system_sgpr_workgroup_id_x 1
		.amdhsa_system_sgpr_workgroup_id_y 0
		.amdhsa_system_sgpr_workgroup_id_z 0
		.amdhsa_system_sgpr_workgroup_info 0
		.amdhsa_system_vgpr_workitem_id 0
		.amdhsa_next_free_vgpr 9
		.amdhsa_next_free_sgpr 11
		.amdhsa_reserve_vcc 1
		.amdhsa_reserve_flat_scratch 0
		.amdhsa_float_round_mode_32 0
		.amdhsa_float_round_mode_16_64 0
		.amdhsa_float_denorm_mode_32 3
		.amdhsa_float_denorm_mode_16_64 3
		.amdhsa_dx10_clamp 1
		.amdhsa_ieee_mode 1
		.amdhsa_fp16_overflow 0
		.amdhsa_exception_fp_ieee_invalid_op 0
		.amdhsa_exception_fp_denorm_src 0
		.amdhsa_exception_fp_ieee_div_zero 0
		.amdhsa_exception_fp_ieee_overflow 0
		.amdhsa_exception_fp_ieee_underflow 0
		.amdhsa_exception_fp_ieee_inexact 0
		.amdhsa_exception_int_div_zero 0
	.end_amdhsa_kernel
	.section	.text._Z11rank_kernelILj60ELj1ELj3ELb1EL18RadixRankAlgorithm0EfEvPKT4_Pijj,"axG",@progbits,_Z11rank_kernelILj60ELj1ELj3ELb1EL18RadixRankAlgorithm0EfEvPKT4_Pijj,comdat
.Lfunc_end3:
	.size	_Z11rank_kernelILj60ELj1ELj3ELb1EL18RadixRankAlgorithm0EfEvPKT4_Pijj, .Lfunc_end3-_Z11rank_kernelILj60ELj1ELj3ELb1EL18RadixRankAlgorithm0EfEvPKT4_Pijj
                                        ; -- End function
	.set _Z11rank_kernelILj60ELj1ELj3ELb1EL18RadixRankAlgorithm0EfEvPKT4_Pijj.num_vgpr, 9
	.set _Z11rank_kernelILj60ELj1ELj3ELb1EL18RadixRankAlgorithm0EfEvPKT4_Pijj.num_agpr, 0
	.set _Z11rank_kernelILj60ELj1ELj3ELb1EL18RadixRankAlgorithm0EfEvPKT4_Pijj.numbered_sgpr, 11
	.set _Z11rank_kernelILj60ELj1ELj3ELb1EL18RadixRankAlgorithm0EfEvPKT4_Pijj.num_named_barrier, 0
	.set _Z11rank_kernelILj60ELj1ELj3ELb1EL18RadixRankAlgorithm0EfEvPKT4_Pijj.private_seg_size, 0
	.set _Z11rank_kernelILj60ELj1ELj3ELb1EL18RadixRankAlgorithm0EfEvPKT4_Pijj.uses_vcc, 1
	.set _Z11rank_kernelILj60ELj1ELj3ELb1EL18RadixRankAlgorithm0EfEvPKT4_Pijj.uses_flat_scratch, 0
	.set _Z11rank_kernelILj60ELj1ELj3ELb1EL18RadixRankAlgorithm0EfEvPKT4_Pijj.has_dyn_sized_stack, 0
	.set _Z11rank_kernelILj60ELj1ELj3ELb1EL18RadixRankAlgorithm0EfEvPKT4_Pijj.has_recursion, 0
	.set _Z11rank_kernelILj60ELj1ELj3ELb1EL18RadixRankAlgorithm0EfEvPKT4_Pijj.has_indirect_call, 0
	.section	.AMDGPU.csdata,"",@progbits
; Kernel info:
; codeLenInByte = 628
; TotalNumSgprs: 15
; NumVgprs: 9
; ScratchSize: 0
; MemoryBound: 0
; FloatMode: 240
; IeeeMode: 1
; LDSByteSize: 976 bytes/workgroup (compile time only)
; SGPRBlocks: 1
; VGPRBlocks: 2
; NumSGPRsForWavesPerEU: 15
; NumVGPRsForWavesPerEU: 9
; Occupancy: 10
; WaveLimiterHint : 0
; COMPUTE_PGM_RSRC2:SCRATCH_EN: 0
; COMPUTE_PGM_RSRC2:USER_SGPR: 6
; COMPUTE_PGM_RSRC2:TRAP_HANDLER: 0
; COMPUTE_PGM_RSRC2:TGID_X_EN: 1
; COMPUTE_PGM_RSRC2:TGID_Y_EN: 0
; COMPUTE_PGM_RSRC2:TGID_Z_EN: 0
; COMPUTE_PGM_RSRC2:TIDIG_COMP_CNT: 0
	.section	.text._Z11rank_kernelILj102ELj3ELj3ELb1EL18RadixRankAlgorithm0EtEvPKT4_Pijj,"axG",@progbits,_Z11rank_kernelILj102ELj3ELj3ELb1EL18RadixRankAlgorithm0EtEvPKT4_Pijj,comdat
	.protected	_Z11rank_kernelILj102ELj3ELj3ELb1EL18RadixRankAlgorithm0EtEvPKT4_Pijj ; -- Begin function _Z11rank_kernelILj102ELj3ELj3ELb1EL18RadixRankAlgorithm0EtEvPKT4_Pijj
	.globl	_Z11rank_kernelILj102ELj3ELj3ELb1EL18RadixRankAlgorithm0EtEvPKT4_Pijj
	.p2align	8
	.type	_Z11rank_kernelILj102ELj3ELj3ELb1EL18RadixRankAlgorithm0EtEvPKT4_Pijj,@function
_Z11rank_kernelILj102ELj3ELj3ELb1EL18RadixRankAlgorithm0EtEvPKT4_Pijj: ; @_Z11rank_kernelILj102ELj3ELj3ELb1EL18RadixRankAlgorithm0EtEvPKT4_Pijj
; %bb.0:
	s_load_dwordx4 s[0:3], s[4:5], 0x0
	s_mulk_i32 s6, 0x132
	s_mov_b32 s7, 0
	s_lshl_b64 s[8:9], s[6:7], 1
	v_mul_u32_u24_e32 v1, 3, v0
	s_waitcnt lgkmcnt(0)
	s_add_u32 s0, s0, s8
	s_addc_u32 s1, s1, s9
	v_lshlrev_b32_e32 v2, 1, v1
	global_load_dword v4, v2, s[0:1]
	global_load_ushort v6, v2, s[0:1] offset:4
	s_movk_i32 s0, 0x198
	v_mov_b32_e32 v2, 0
	v_cmp_gt_u32_e32 vcc, s0, v0
	s_and_saveexec_b64 s[0:1], vcc
	s_cbranch_execz .LBB4_3
; %bb.1:
	v_lshlrev_b32_e32 v3, 2, v0
	v_add_u32_e32 v5, 0xffffff9a, v0
	s_mov_b64 s[8:9], 0
	s_movk_i32 s10, 0x131
.LBB4_2:                                ; =>This Inner Loop Header: Depth=1
	v_add_u32_e32 v5, 0x66, v5
	v_cmp_lt_u32_e32 vcc, s10, v5
	ds_write_b32 v3, v2
	s_or_b64 s[8:9], vcc, s[8:9]
	v_add_u32_e32 v3, 0x198, v3
	s_andn2_b64 exec, exec, s[8:9]
	s_cbranch_execnz .LBB4_2
.LBB4_3:
	s_or_b64 exec, exec, s[0:1]
	s_load_dwordx2 s[0:1], s[4:5], 0x10
	s_movk_i32 s8, 0x66
	s_waitcnt lgkmcnt(0)
	s_and_b32 s1, s1, 31
	s_cmp_eq_u32 s1, 0
	s_cselect_b64 s[4:5], -1, 0
	s_and_b32 s0, s0, 31
	s_add_i32 s0, s0, s1
	s_sub_i32 s0, 32, s0
	s_sub_i32 s9, 32, s1
	s_waitcnt vmcnt(1)
	v_lshlrev_b32_sdwa v2, s0, v4 dst_sel:DWORD dst_unused:UNUSED_PAD src0_sel:DWORD src1_sel:WORD_0
	v_bfe_u32 v2, v2, s9, 16
	v_xor_b32_e32 v2, 7, v2
	v_cndmask_b32_e64 v2, v2, 7, s[4:5]
	v_and_b32_e32 v3, 3, v2
	v_lshrrev_b32_e32 v2, 1, v2
	v_mad_u32_u24 v3, v3, s8, v0
	v_and_b32_e32 v2, 0x7ffe, v2
	v_lshl_add_u32 v3, v3, 2, v2
	ds_read_u16 v2, v3
	v_lshlrev_b32_sdwa v4, s0, v4 dst_sel:DWORD dst_unused:UNUSED_PAD src0_sel:DWORD src1_sel:WORD_1
	v_bfe_u32 v4, v4, s9, 16
	v_xor_b32_e32 v4, 7, v4
	v_cndmask_b32_e64 v4, v4, 7, s[4:5]
	s_waitcnt lgkmcnt(0)
	v_add_u16_e32 v5, 1, v2
	ds_write_b16 v3, v5
	v_and_b32_e32 v5, 3, v4
	v_lshrrev_b32_e32 v4, 1, v4
	v_mad_u32_u24 v5, v5, s8, v0
	v_and_b32_e32 v4, 0x7ffe, v4
	v_lshl_add_u32 v5, v5, 2, v4
	ds_read_u16 v4, v5
	s_waitcnt vmcnt(0)
	v_lshlrev_b32_sdwa v6, s0, v6 dst_sel:DWORD dst_unused:UNUSED_PAD src0_sel:DWORD src1_sel:WORD_0
	v_bfe_u32 v6, v6, s9, 16
	v_xor_b32_e32 v6, 7, v6
	v_cndmask_b32_e64 v6, v6, 7, s[4:5]
	s_waitcnt lgkmcnt(0)
	v_add_u16_e32 v7, 1, v4
	ds_write_b16 v5, v7
	v_and_b32_e32 v7, 3, v6
	v_lshrrev_b32_e32 v6, 1, v6
	v_mad_u32_u24 v7, v7, s8, v0
	v_and_b32_e32 v6, 0x7ffe, v6
	v_lshl_add_u32 v7, v7, 2, v6
	ds_read_u16 v6, v7
	s_waitcnt lgkmcnt(0)
	v_add_u16_e32 v8, 1, v6
	ds_write_b16 v7, v8
	v_lshlrev_b32_e32 v8, 4, v0
	s_waitcnt lgkmcnt(0)
	s_barrier
	ds_read_b128 v[9:12], v8
	s_waitcnt lgkmcnt(0)
	v_add_u32_e32 v9, v10, v9
	v_add3_u32 v10, v9, v11, v12
	v_mbcnt_lo_u32_b32 v9, -1, 0
	v_mbcnt_hi_u32_b32 v9, -1, v9
	v_and_b32_e32 v11, 15, v9
	v_mov_b32_dpp v12, v10 row_shr:1 row_mask:0xf bank_mask:0xf
	v_cmp_ne_u32_e32 vcc, 0, v11
	v_cndmask_b32_e32 v12, 0, v12, vcc
	v_add_u32_e32 v10, v12, v10
	v_cmp_lt_u32_e32 vcc, 1, v11
	s_nop 0
	v_mov_b32_dpp v12, v10 row_shr:2 row_mask:0xf bank_mask:0xf
	v_cndmask_b32_e32 v12, 0, v12, vcc
	v_add_u32_e32 v10, v10, v12
	v_cmp_lt_u32_e32 vcc, 3, v11
	s_nop 0
	v_mov_b32_dpp v12, v10 row_shr:4 row_mask:0xf bank_mask:0xf
	;; [unrolled: 5-line block ×3, first 2 shown]
	v_cndmask_b32_e32 v11, 0, v12, vcc
	v_add_u32_e32 v10, v10, v11
	v_bfe_i32 v12, v9, 4, 1
	v_cmp_lt_u32_e32 vcc, 31, v9
	v_mov_b32_dpp v11, v10 row_bcast:15 row_mask:0xf bank_mask:0xf
	v_and_b32_e32 v11, v12, v11
	v_add_u32_e32 v10, v10, v11
	v_and_b32_e32 v12, 64, v0
	v_min_u32_e32 v12, 38, v12
	v_mov_b32_dpp v11, v10 row_bcast:31 row_mask:0xf bank_mask:0xf
	v_cndmask_b32_e32 v11, 0, v11, vcc
	v_add_u32_e32 v10, v10, v11
	v_lshrrev_b32_e32 v11, 6, v0
	v_add_u32_e32 v12, 63, v12
	v_cmp_eq_u32_e32 vcc, v0, v12
	v_lshlrev_b32_e32 v11, 2, v11
	s_and_saveexec_b64 s[0:1], vcc
; %bb.4:
	ds_write_b32 v11, v10 offset:1632
; %bb.5:
	s_or_b64 exec, exec, s[0:1]
	v_cmp_gt_u32_e32 vcc, 2, v0
	s_waitcnt lgkmcnt(0)
	s_barrier
	s_and_saveexec_b64 s[0:1], vcc
	s_cbranch_execz .LBB4_7
; %bb.6:
	v_mad_i32_i24 v12, v0, -12, v8
	ds_read_b32 v13, v12 offset:1632
	v_bfe_i32 v14, v9, 0, 1
	s_waitcnt lgkmcnt(0)
	v_mov_b32_dpp v15, v13 row_shr:1 row_mask:0xf bank_mask:0xf
	v_and_b32_e32 v14, v14, v15
	v_add_u32_e32 v13, v14, v13
	ds_write_b32 v12, v13 offset:1632
.LBB4_7:
	s_or_b64 exec, exec, s[0:1]
	v_cmp_lt_u32_e32 vcc, 63, v0
	v_mov_b32_e32 v12, 0
	v_mov_b32_e32 v0, 0
	s_waitcnt lgkmcnt(0)
	s_barrier
	s_and_saveexec_b64 s[0:1], vcc
; %bb.8:
	ds_read_b32 v0, v11 offset:1628
; %bb.9:
	s_or_b64 exec, exec, s[0:1]
	v_subrev_co_u32_e32 v11, vcc, 1, v9
	v_and_b32_e32 v13, 64, v9
	v_cmp_lt_i32_e64 s[0:1], v11, v13
	v_cndmask_b32_e64 v9, v11, v9, s[0:1]
	s_waitcnt lgkmcnt(0)
	v_add_u32_e32 v10, v0, v10
	v_lshlrev_b32_e32 v9, 2, v9
	ds_bpermute_b32 v9, v9, v10
	ds_read_b32 v13, v12 offset:1636
	ds_read_b96 v[10:12], v8
	s_lshl_b64 s[0:1], s[6:7], 2
	s_add_u32 s0, s2, s0
	s_addc_u32 s1, s3, s1
	s_waitcnt lgkmcnt(2)
	v_cndmask_b32_e32 v0, v9, v0, vcc
	s_waitcnt lgkmcnt(1)
	v_lshl_add_u32 v9, v13, 16, v0
	s_waitcnt lgkmcnt(0)
	v_add_u32_e32 v10, v9, v10
	v_add_u32_e32 v11, v11, v10
	;; [unrolled: 1-line block ×3, first 2 shown]
	ds_write_b128 v8, v[9:12]
	s_waitcnt lgkmcnt(0)
	s_barrier
	ds_read_u16 v0, v3
	ds_read_u16 v3, v5
	;; [unrolled: 1-line block ×3, first 2 shown]
	s_waitcnt lgkmcnt(2)
	v_add_u32_sdwa v2, v0, v2 dst_sel:DWORD dst_unused:UNUSED_PAD src0_sel:DWORD src1_sel:WORD_0
	s_waitcnt lgkmcnt(1)
	v_add_u32_sdwa v3, v3, v4 dst_sel:DWORD dst_unused:UNUSED_PAD src0_sel:DWORD src1_sel:WORD_0
	;; [unrolled: 2-line block ×3, first 2 shown]
	v_lshlrev_b32_e32 v0, 2, v1
	global_store_dwordx3 v0, v[2:4], s[0:1]
	s_endpgm
	.section	.rodata,"a",@progbits
	.p2align	6, 0x0
	.amdhsa_kernel _Z11rank_kernelILj102ELj3ELj3ELb1EL18RadixRankAlgorithm0EtEvPKT4_Pijj
		.amdhsa_group_segment_fixed_size 1648
		.amdhsa_private_segment_fixed_size 0
		.amdhsa_kernarg_size 24
		.amdhsa_user_sgpr_count 6
		.amdhsa_user_sgpr_private_segment_buffer 1
		.amdhsa_user_sgpr_dispatch_ptr 0
		.amdhsa_user_sgpr_queue_ptr 0
		.amdhsa_user_sgpr_kernarg_segment_ptr 1
		.amdhsa_user_sgpr_dispatch_id 0
		.amdhsa_user_sgpr_flat_scratch_init 0
		.amdhsa_user_sgpr_private_segment_size 0
		.amdhsa_uses_dynamic_stack 0
		.amdhsa_system_sgpr_private_segment_wavefront_offset 0
		.amdhsa_system_sgpr_workgroup_id_x 1
		.amdhsa_system_sgpr_workgroup_id_y 0
		.amdhsa_system_sgpr_workgroup_id_z 0
		.amdhsa_system_sgpr_workgroup_info 0
		.amdhsa_system_vgpr_workitem_id 0
		.amdhsa_next_free_vgpr 16
		.amdhsa_next_free_sgpr 11
		.amdhsa_reserve_vcc 1
		.amdhsa_reserve_flat_scratch 0
		.amdhsa_float_round_mode_32 0
		.amdhsa_float_round_mode_16_64 0
		.amdhsa_float_denorm_mode_32 3
		.amdhsa_float_denorm_mode_16_64 3
		.amdhsa_dx10_clamp 1
		.amdhsa_ieee_mode 1
		.amdhsa_fp16_overflow 0
		.amdhsa_exception_fp_ieee_invalid_op 0
		.amdhsa_exception_fp_denorm_src 0
		.amdhsa_exception_fp_ieee_div_zero 0
		.amdhsa_exception_fp_ieee_overflow 0
		.amdhsa_exception_fp_ieee_underflow 0
		.amdhsa_exception_fp_ieee_inexact 0
		.amdhsa_exception_int_div_zero 0
	.end_amdhsa_kernel
	.section	.text._Z11rank_kernelILj102ELj3ELj3ELb1EL18RadixRankAlgorithm0EtEvPKT4_Pijj,"axG",@progbits,_Z11rank_kernelILj102ELj3ELj3ELb1EL18RadixRankAlgorithm0EtEvPKT4_Pijj,comdat
.Lfunc_end4:
	.size	_Z11rank_kernelILj102ELj3ELj3ELb1EL18RadixRankAlgorithm0EtEvPKT4_Pijj, .Lfunc_end4-_Z11rank_kernelILj102ELj3ELj3ELb1EL18RadixRankAlgorithm0EtEvPKT4_Pijj
                                        ; -- End function
	.set _Z11rank_kernelILj102ELj3ELj3ELb1EL18RadixRankAlgorithm0EtEvPKT4_Pijj.num_vgpr, 16
	.set _Z11rank_kernelILj102ELj3ELj3ELb1EL18RadixRankAlgorithm0EtEvPKT4_Pijj.num_agpr, 0
	.set _Z11rank_kernelILj102ELj3ELj3ELb1EL18RadixRankAlgorithm0EtEvPKT4_Pijj.numbered_sgpr, 11
	.set _Z11rank_kernelILj102ELj3ELj3ELb1EL18RadixRankAlgorithm0EtEvPKT4_Pijj.num_named_barrier, 0
	.set _Z11rank_kernelILj102ELj3ELj3ELb1EL18RadixRankAlgorithm0EtEvPKT4_Pijj.private_seg_size, 0
	.set _Z11rank_kernelILj102ELj3ELj3ELb1EL18RadixRankAlgorithm0EtEvPKT4_Pijj.uses_vcc, 1
	.set _Z11rank_kernelILj102ELj3ELj3ELb1EL18RadixRankAlgorithm0EtEvPKT4_Pijj.uses_flat_scratch, 0
	.set _Z11rank_kernelILj102ELj3ELj3ELb1EL18RadixRankAlgorithm0EtEvPKT4_Pijj.has_dyn_sized_stack, 0
	.set _Z11rank_kernelILj102ELj3ELj3ELb1EL18RadixRankAlgorithm0EtEvPKT4_Pijj.has_recursion, 0
	.set _Z11rank_kernelILj102ELj3ELj3ELb1EL18RadixRankAlgorithm0EtEvPKT4_Pijj.has_indirect_call, 0
	.section	.AMDGPU.csdata,"",@progbits
; Kernel info:
; codeLenInByte = 988
; TotalNumSgprs: 15
; NumVgprs: 16
; ScratchSize: 0
; MemoryBound: 0
; FloatMode: 240
; IeeeMode: 1
; LDSByteSize: 1648 bytes/workgroup (compile time only)
; SGPRBlocks: 1
; VGPRBlocks: 3
; NumSGPRsForWavesPerEU: 15
; NumVGPRsForWavesPerEU: 16
; Occupancy: 10
; WaveLimiterHint : 0
; COMPUTE_PGM_RSRC2:SCRATCH_EN: 0
; COMPUTE_PGM_RSRC2:USER_SGPR: 6
; COMPUTE_PGM_RSRC2:TRAP_HANDLER: 0
; COMPUTE_PGM_RSRC2:TGID_X_EN: 1
; COMPUTE_PGM_RSRC2:TGID_Y_EN: 0
; COMPUTE_PGM_RSRC2:TGID_Z_EN: 0
; COMPUTE_PGM_RSRC2:TIDIG_COMP_CNT: 0
	.section	.text._Z11rank_kernelILj64ELj1ELj5ELb0EL18RadixRankAlgorithm0EyEvPKT4_Pijj,"axG",@progbits,_Z11rank_kernelILj64ELj1ELj5ELb0EL18RadixRankAlgorithm0EyEvPKT4_Pijj,comdat
	.protected	_Z11rank_kernelILj64ELj1ELj5ELb0EL18RadixRankAlgorithm0EyEvPKT4_Pijj ; -- Begin function _Z11rank_kernelILj64ELj1ELj5ELb0EL18RadixRankAlgorithm0EyEvPKT4_Pijj
	.globl	_Z11rank_kernelILj64ELj1ELj5ELb0EL18RadixRankAlgorithm0EyEvPKT4_Pijj
	.p2align	8
	.type	_Z11rank_kernelILj64ELj1ELj5ELb0EL18RadixRankAlgorithm0EyEvPKT4_Pijj,@function
_Z11rank_kernelILj64ELj1ELj5ELb0EL18RadixRankAlgorithm0EyEvPKT4_Pijj: ; @_Z11rank_kernelILj64ELj1ELj5ELb0EL18RadixRankAlgorithm0EyEvPKT4_Pijj
; %bb.0:
	s_load_dwordx4 s[0:3], s[4:5], 0x0
	s_lshl_b32 s6, s6, 6
	s_mov_b32 s7, 0
	s_lshl_b64 s[8:9], s[6:7], 3
	v_lshlrev_b32_e32 v1, 3, v0
	s_waitcnt lgkmcnt(0)
	s_add_u32 s0, s0, s8
	s_addc_u32 s1, s1, s9
	global_load_dwordx2 v[1:2], v1, s[0:1]
	v_mov_b32_e32 v3, 0
	v_lshlrev_b32_e32 v4, 2, v0
	v_or_b32_e32 v5, 0xffffffc0, v0
	s_mov_b64 s[0:1], 0
	s_movk_i32 s8, 0x3bf
.LBB5_1:                                ; =>This Inner Loop Header: Depth=1
	v_add_u32_e32 v5, 64, v5
	v_cmp_lt_u32_e32 vcc, s8, v5
	ds_write_b32 v4, v3
	s_or_b64 s[0:1], vcc, s[0:1]
	v_add_u32_e32 v4, 0x100, v4
	s_andn2_b64 exec, exec, s[0:1]
	s_cbranch_execnz .LBB5_1
; %bb.2:
	s_or_b64 exec, exec, s[0:1]
	s_load_dwordx2 s[0:1], s[4:5], 0x10
	s_waitcnt lgkmcnt(0)
	s_and_b32 s1, s1, 63
	s_cmp_lg_u32 s1, 0
	s_cbranch_scc0 .LBB5_4
; %bb.3:
	s_and_b32 s0, s0, 63
	s_add_i32 s0, s0, s1
	s_sub_i32 s0, 64, s0
	s_waitcnt vmcnt(0)
	v_lshlrev_b64 v[1:2], s0, v[1:2]
	s_sub_i32 s0, 64, s1
	v_lshrrev_b64 v[1:2], s0, v[1:2]
	s_branch .LBB5_5
.LBB5_4:
	s_waitcnt vmcnt(0)
	v_mov_b32_e32 v1, 0
.LBB5_5:
	v_lshlrev_b32_e32 v2, 6, v1
	s_movk_i32 s0, 0x3c0
	v_lshrrev_b32_e32 v1, 3, v1
	v_and_or_b32 v2, v2, s0, v0
	v_and_b32_e32 v1, 0x1ffffffe, v1
	v_lshl_add_u32 v1, v2, 2, v1
	ds_read_u16 v2, v1
	s_waitcnt lgkmcnt(0)
	v_add_u16_e32 v3, 1, v2
	ds_write_b16 v1, v3
	v_lshlrev_b32_e32 v3, 6, v0
	s_waitcnt lgkmcnt(0)
	; wave barrier
	ds_read_b128 v[4:7], v3
	ds_read_b128 v[8:11], v3 offset:16
	ds_read_b128 v[12:15], v3 offset:32
	;; [unrolled: 1-line block ×3, first 2 shown]
	s_waitcnt lgkmcnt(3)
	v_add_u32_e32 v4, v5, v4
	v_add3_u32 v4, v4, v6, v7
	s_waitcnt lgkmcnt(2)
	v_add3_u32 v4, v4, v8, v9
	v_add3_u32 v4, v4, v10, v11
	s_waitcnt lgkmcnt(1)
	v_add3_u32 v4, v4, v12, v13
	;; [unrolled: 3-line block ×3, first 2 shown]
	v_add3_u32 v5, v4, v18, v19
	v_mbcnt_lo_u32_b32 v4, -1, 0
	v_mbcnt_hi_u32_b32 v4, -1, v4
	v_and_b32_e32 v6, 15, v4
	v_mov_b32_dpp v7, v5 row_shr:1 row_mask:0xf bank_mask:0xf
	v_cmp_ne_u32_e32 vcc, 0, v6
	v_cndmask_b32_e32 v7, 0, v7, vcc
	v_add_u32_e32 v5, v7, v5
	v_cmp_lt_u32_e32 vcc, 1, v6
	s_nop 0
	v_mov_b32_dpp v7, v5 row_shr:2 row_mask:0xf bank_mask:0xf
	v_cndmask_b32_e32 v7, 0, v7, vcc
	v_add_u32_e32 v5, v5, v7
	v_cmp_lt_u32_e32 vcc, 3, v6
	s_nop 0
	v_mov_b32_dpp v7, v5 row_shr:4 row_mask:0xf bank_mask:0xf
	v_cndmask_b32_e32 v7, 0, v7, vcc
	v_add_u32_e32 v5, v5, v7
	v_cmp_lt_u32_e32 vcc, 7, v6
	s_nop 0
	v_mov_b32_dpp v7, v5 row_shr:8 row_mask:0xf bank_mask:0xf
	v_cndmask_b32_e32 v6, 0, v7, vcc
	v_add_u32_e32 v5, v5, v6
	v_bfe_i32 v7, v4, 4, 1
	v_cmp_lt_u32_e32 vcc, 31, v4
	v_mov_b32_dpp v6, v5 row_bcast:15 row_mask:0xf bank_mask:0xf
	v_and_b32_e32 v6, v7, v6
	v_add_u32_e32 v5, v5, v6
	s_nop 1
	v_mov_b32_dpp v6, v5 row_bcast:31 row_mask:0xf bank_mask:0xf
	v_cndmask_b32_e32 v6, 0, v6, vcc
	v_add_u32_e32 v5, v5, v6
	v_cmp_eq_u32_e32 vcc, 63, v0
	s_and_saveexec_b64 s[0:1], vcc
; %bb.6:
	v_mov_b32_e32 v6, 0
	ds_write_b32 v6, v5 offset:4096
; %bb.7:
	s_or_b64 exec, exec, s[0:1]
	v_subrev_co_u32_e32 v6, vcc, 1, v4
	v_and_b32_e32 v7, 64, v4
	v_cmp_lt_i32_e64 s[0:1], v6, v7
	v_cndmask_b32_e64 v4, v6, v4, s[0:1]
	v_lshlrev_b32_e32 v4, 2, v4
	ds_bpermute_b32 v4, v4, v5
	v_mov_b32_e32 v5, 0
	s_waitcnt lgkmcnt(0)
	; wave barrier
	ds_read_b32 v8, v5 offset:4096
	v_cndmask_b32_e64 v9, v4, 0, vcc
	ds_read_b128 v[4:7], v3
	ds_read_b128 v[12:15], v3 offset:16
	ds_read_b128 v[16:19], v3 offset:32
	ds_read_b96 v[20:22], v3 offset:48
	s_lshl_b64 s[0:1], s[6:7], 2
	s_waitcnt lgkmcnt(4)
	v_lshl_add_u32 v8, v8, 16, v9
	s_add_u32 s0, s2, s0
	s_waitcnt lgkmcnt(3)
	v_add_u32_e32 v9, v8, v4
	v_add_u32_e32 v10, v5, v9
	;; [unrolled: 1-line block ×4, first 2 shown]
	s_waitcnt lgkmcnt(2)
	v_add_u32_e32 v5, v12, v4
	v_add_u32_e32 v6, v13, v5
	;; [unrolled: 1-line block ×3, first 2 shown]
	ds_write_b128 v3, v[4:7] offset:16
	v_add_u32_e32 v4, v15, v7
	s_waitcnt lgkmcnt(2)
	v_add_u32_e32 v5, v16, v4
	v_add_u32_e32 v6, v17, v5
	;; [unrolled: 1-line block ×3, first 2 shown]
	ds_write_b128 v3, v[4:7] offset:32
	v_add_u32_e32 v4, v19, v7
	s_waitcnt lgkmcnt(2)
	v_add_u32_e32 v5, v20, v4
	v_add_u32_e32 v6, v21, v5
	;; [unrolled: 1-line block ×3, first 2 shown]
	ds_write_b128 v3, v[8:11]
	ds_write_b128 v3, v[4:7] offset:48
	s_waitcnt lgkmcnt(0)
	; wave barrier
	ds_read_u16 v1, v1
	s_addc_u32 s1, s3, s1
	v_lshlrev_b32_e32 v0, 2, v0
	s_waitcnt lgkmcnt(0)
	v_add_u32_sdwa v1, v1, v2 dst_sel:DWORD dst_unused:UNUSED_PAD src0_sel:DWORD src1_sel:WORD_0
	global_store_dword v0, v1, s[0:1]
	s_endpgm
	.section	.rodata,"a",@progbits
	.p2align	6, 0x0
	.amdhsa_kernel _Z11rank_kernelILj64ELj1ELj5ELb0EL18RadixRankAlgorithm0EyEvPKT4_Pijj
		.amdhsa_group_segment_fixed_size 4112
		.amdhsa_private_segment_fixed_size 0
		.amdhsa_kernarg_size 24
		.amdhsa_user_sgpr_count 6
		.amdhsa_user_sgpr_private_segment_buffer 1
		.amdhsa_user_sgpr_dispatch_ptr 0
		.amdhsa_user_sgpr_queue_ptr 0
		.amdhsa_user_sgpr_kernarg_segment_ptr 1
		.amdhsa_user_sgpr_dispatch_id 0
		.amdhsa_user_sgpr_flat_scratch_init 0
		.amdhsa_user_sgpr_private_segment_size 0
		.amdhsa_uses_dynamic_stack 0
		.amdhsa_system_sgpr_private_segment_wavefront_offset 0
		.amdhsa_system_sgpr_workgroup_id_x 1
		.amdhsa_system_sgpr_workgroup_id_y 0
		.amdhsa_system_sgpr_workgroup_id_z 0
		.amdhsa_system_sgpr_workgroup_info 0
		.amdhsa_system_vgpr_workitem_id 0
		.amdhsa_next_free_vgpr 49
		.amdhsa_next_free_sgpr 98
		.amdhsa_reserve_vcc 1
		.amdhsa_reserve_flat_scratch 0
		.amdhsa_float_round_mode_32 0
		.amdhsa_float_round_mode_16_64 0
		.amdhsa_float_denorm_mode_32 3
		.amdhsa_float_denorm_mode_16_64 3
		.amdhsa_dx10_clamp 1
		.amdhsa_ieee_mode 1
		.amdhsa_fp16_overflow 0
		.amdhsa_exception_fp_ieee_invalid_op 0
		.amdhsa_exception_fp_denorm_src 0
		.amdhsa_exception_fp_ieee_div_zero 0
		.amdhsa_exception_fp_ieee_overflow 0
		.amdhsa_exception_fp_ieee_underflow 0
		.amdhsa_exception_fp_ieee_inexact 0
		.amdhsa_exception_int_div_zero 0
	.end_amdhsa_kernel
	.section	.text._Z11rank_kernelILj64ELj1ELj5ELb0EL18RadixRankAlgorithm0EyEvPKT4_Pijj,"axG",@progbits,_Z11rank_kernelILj64ELj1ELj5ELb0EL18RadixRankAlgorithm0EyEvPKT4_Pijj,comdat
.Lfunc_end5:
	.size	_Z11rank_kernelILj64ELj1ELj5ELb0EL18RadixRankAlgorithm0EyEvPKT4_Pijj, .Lfunc_end5-_Z11rank_kernelILj64ELj1ELj5ELb0EL18RadixRankAlgorithm0EyEvPKT4_Pijj
                                        ; -- End function
	.set _Z11rank_kernelILj64ELj1ELj5ELb0EL18RadixRankAlgorithm0EyEvPKT4_Pijj.num_vgpr, 23
	.set _Z11rank_kernelILj64ELj1ELj5ELb0EL18RadixRankAlgorithm0EyEvPKT4_Pijj.num_agpr, 0
	.set _Z11rank_kernelILj64ELj1ELj5ELb0EL18RadixRankAlgorithm0EyEvPKT4_Pijj.numbered_sgpr, 10
	.set _Z11rank_kernelILj64ELj1ELj5ELb0EL18RadixRankAlgorithm0EyEvPKT4_Pijj.num_named_barrier, 0
	.set _Z11rank_kernelILj64ELj1ELj5ELb0EL18RadixRankAlgorithm0EyEvPKT4_Pijj.private_seg_size, 0
	.set _Z11rank_kernelILj64ELj1ELj5ELb0EL18RadixRankAlgorithm0EyEvPKT4_Pijj.uses_vcc, 1
	.set _Z11rank_kernelILj64ELj1ELj5ELb0EL18RadixRankAlgorithm0EyEvPKT4_Pijj.uses_flat_scratch, 0
	.set _Z11rank_kernelILj64ELj1ELj5ELb0EL18RadixRankAlgorithm0EyEvPKT4_Pijj.has_dyn_sized_stack, 0
	.set _Z11rank_kernelILj64ELj1ELj5ELb0EL18RadixRankAlgorithm0EyEvPKT4_Pijj.has_recursion, 0
	.set _Z11rank_kernelILj64ELj1ELj5ELb0EL18RadixRankAlgorithm0EyEvPKT4_Pijj.has_indirect_call, 0
	.section	.AMDGPU.csdata,"",@progbits
; Kernel info:
; codeLenInByte = 804
; TotalNumSgprs: 14
; NumVgprs: 23
; ScratchSize: 0
; MemoryBound: 0
; FloatMode: 240
; IeeeMode: 1
; LDSByteSize: 4112 bytes/workgroup (compile time only)
; SGPRBlocks: 12
; VGPRBlocks: 12
; NumSGPRsForWavesPerEU: 102
; NumVGPRsForWavesPerEU: 49
; Occupancy: 4
; WaveLimiterHint : 0
; COMPUTE_PGM_RSRC2:SCRATCH_EN: 0
; COMPUTE_PGM_RSRC2:USER_SGPR: 6
; COMPUTE_PGM_RSRC2:TRAP_HANDLER: 0
; COMPUTE_PGM_RSRC2:TGID_X_EN: 1
; COMPUTE_PGM_RSRC2:TGID_Y_EN: 0
; COMPUTE_PGM_RSRC2:TGID_Z_EN: 0
; COMPUTE_PGM_RSRC2:TIDIG_COMP_CNT: 0
	.section	.text._Z11rank_kernelILj234ELj9ELj4ELb0EL18RadixRankAlgorithm0E12hip_bfloat16EvPKT4_Pijj,"axG",@progbits,_Z11rank_kernelILj234ELj9ELj4ELb0EL18RadixRankAlgorithm0E12hip_bfloat16EvPKT4_Pijj,comdat
	.protected	_Z11rank_kernelILj234ELj9ELj4ELb0EL18RadixRankAlgorithm0E12hip_bfloat16EvPKT4_Pijj ; -- Begin function _Z11rank_kernelILj234ELj9ELj4ELb0EL18RadixRankAlgorithm0E12hip_bfloat16EvPKT4_Pijj
	.globl	_Z11rank_kernelILj234ELj9ELj4ELb0EL18RadixRankAlgorithm0E12hip_bfloat16EvPKT4_Pijj
	.p2align	8
	.type	_Z11rank_kernelILj234ELj9ELj4ELb0EL18RadixRankAlgorithm0E12hip_bfloat16EvPKT4_Pijj,@function
_Z11rank_kernelILj234ELj9ELj4ELb0EL18RadixRankAlgorithm0E12hip_bfloat16EvPKT4_Pijj: ; @_Z11rank_kernelILj234ELj9ELj4ELb0EL18RadixRankAlgorithm0E12hip_bfloat16EvPKT4_Pijj
; %bb.0:
	s_load_dwordx4 s[0:3], s[4:5], 0x0
	s_mulk_i32 s6, 0x83a
	s_mov_b32 s7, 0
	s_lshl_b64 s[8:9], s[6:7], 1
	v_mul_u32_u24_e32 v5, 9, v0
	s_waitcnt lgkmcnt(0)
	s_add_u32 s0, s0, s8
	s_addc_u32 s1, s1, s9
	v_lshlrev_b32_e32 v6, 1, v5
	global_load_dwordx4 v[1:4], v6, s[0:1]
	global_load_ushort v13, v6, s[0:1] offset:16
	v_lshlrev_b32_e32 v6, 2, v0
	s_movk_i32 s0, 0x3a8
	v_mov_b32_e32 v7, 0
	v_add_u32_e32 v8, 0x700, v6
	v_cmp_gt_u32_e32 vcc, s0, v0
	ds_write2_b32 v6, v7, v7 offset1:234
	ds_write2_b32 v8, v7, v7 offset0:20 offset1:254
	s_and_saveexec_b64 s[0:1], vcc
	s_cbranch_execz .LBB6_5
; %bb.1:
	s_movk_i32 s8, 0x2be
	v_cmp_gt_u32_e32 vcc, s8, v0
	ds_write_b32 v6, v7 offset:3744
	s_and_b64 exec, exec, vcc
	s_cbranch_execz .LBB6_5
; %bb.2:
	s_movk_i32 s8, 0x1d4
	v_mov_b32_e32 v7, 0
	v_cmp_gt_u32_e32 vcc, s8, v0
	ds_write_b32 v6, v7 offset:4680
	s_and_b64 exec, exec, vcc
	s_cbranch_execz .LBB6_5
; %bb.3:
	s_movk_i32 s8, 0xea
	v_cmp_gt_u32_e32 vcc, s8, v0
	ds_write_b32 v6, v7 offset:5616
	s_and_b64 exec, exec, vcc
; %bb.4:
	v_mov_b32_e32 v7, 0
	ds_write_b32 v6, v7 offset:6552
.LBB6_5:
	s_or_b64 exec, exec, s[0:1]
	s_load_dwordx2 s[4:5], s[4:5], 0x10
	v_mov_b32_e32 v19, 0xffff8000
	s_waitcnt vmcnt(1)
	v_cmp_lt_i16_e32 vcc, -1, v1
	v_cndmask_b32_e32 v6, -1, v19, vcc
	v_xor_b32_e32 v6, v6, v1
	s_waitcnt lgkmcnt(0)
	s_and_b32 s5, s5, 31
	s_cmp_eq_u32 s5, 0
	s_cselect_b64 s[0:1], -1, 0
	s_and_b32 s4, s4, 31
	s_movk_i32 s8, 0x7fff
	s_add_i32 s4, s4, s5
	v_cmp_ne_u16_e32 vcc, s8, v6
	s_sub_i32 s4, 32, s4
	v_cndmask_b32_e32 v6, v19, v6, vcc
	s_sub_i32 s5, 32, s5
	v_lshlrev_b32_sdwa v6, s4, v6 dst_sel:DWORD dst_unused:UNUSED_PAD src0_sel:DWORD src1_sel:WORD_0
	v_bfe_u32 v6, v6, s5, 16
	v_cndmask_b32_e64 v6, v6, 0, s[0:1]
	v_and_b32_e32 v7, 7, v6
	s_movk_i32 s9, 0xea
	v_lshrrev_b32_e32 v6, 2, v6
	v_mov_b32_e32 v18, -1
	v_mad_u32_u24 v7, v7, s9, v0
	v_and_b32_e32 v6, 0x3ffe, v6
	v_cmp_gt_i16_sdwa vcc, v1, v18 src0_sel:WORD_1 src1_sel:DWORD
	v_lshl_add_u32 v7, v7, 2, v6
	v_cndmask_b32_e32 v8, -1, v19, vcc
	ds_read_u16 v6, v7
	v_xor_b32_sdwa v1, v8, v1 dst_sel:DWORD dst_unused:UNUSED_PAD src0_sel:DWORD src1_sel:WORD_1
	v_cmp_ne_u16_e32 vcc, s8, v1
	v_cndmask_b32_e32 v1, v19, v1, vcc
	v_lshlrev_b32_sdwa v1, s4, v1 dst_sel:DWORD dst_unused:UNUSED_PAD src0_sel:DWORD src1_sel:WORD_0
	v_bfe_u32 v1, v1, s5, 16
	s_waitcnt lgkmcnt(0)
	v_add_u16_e32 v8, 1, v6
	v_cndmask_b32_e64 v1, v1, 0, s[0:1]
	ds_write_b16 v7, v8
	v_and_b32_e32 v8, 7, v1
	v_lshrrev_b32_e32 v1, 2, v1
	v_mad_u32_u24 v8, v8, s9, v0
	v_and_b32_e32 v1, 0x3ffe, v1
	v_cmp_lt_i16_e32 vcc, -1, v2
	v_lshl_add_u32 v8, v8, 2, v1
	v_cndmask_b32_e32 v9, -1, v19, vcc
	ds_read_u16 v1, v8
	v_xor_b32_e32 v9, v9, v2
	v_cmp_ne_u16_e32 vcc, s8, v9
	v_cndmask_b32_e32 v9, v19, v9, vcc
	v_lshlrev_b32_sdwa v9, s4, v9 dst_sel:DWORD dst_unused:UNUSED_PAD src0_sel:DWORD src1_sel:WORD_0
	v_bfe_u32 v9, v9, s5, 16
	s_waitcnt lgkmcnt(0)
	v_add_u16_e32 v10, 1, v1
	v_cndmask_b32_e64 v9, v9, 0, s[0:1]
	ds_write_b16 v8, v10
	v_and_b32_e32 v10, 7, v9
	v_lshrrev_b32_e32 v9, 2, v9
	v_mad_u32_u24 v10, v10, s9, v0
	v_and_b32_e32 v9, 0x3ffe, v9
	v_cmp_gt_i16_sdwa vcc, v2, v18 src0_sel:WORD_1 src1_sel:DWORD
	v_lshl_add_u32 v10, v10, 2, v9
	v_cndmask_b32_e32 v11, -1, v19, vcc
	ds_read_u16 v9, v10
	v_xor_b32_sdwa v2, v11, v2 dst_sel:DWORD dst_unused:UNUSED_PAD src0_sel:DWORD src1_sel:WORD_1
	v_cmp_ne_u16_e32 vcc, s8, v2
	v_cndmask_b32_e32 v2, v19, v2, vcc
	v_lshlrev_b32_sdwa v2, s4, v2 dst_sel:DWORD dst_unused:UNUSED_PAD src0_sel:DWORD src1_sel:WORD_0
	v_bfe_u32 v2, v2, s5, 16
	s_waitcnt lgkmcnt(0)
	v_add_u16_e32 v11, 1, v9
	v_cndmask_b32_e64 v2, v2, 0, s[0:1]
	ds_write_b16 v10, v11
	v_and_b32_e32 v11, 7, v2
	v_lshrrev_b32_e32 v2, 2, v2
	v_mad_u32_u24 v11, v11, s9, v0
	v_and_b32_e32 v2, 0x3ffe, v2
	v_cmp_lt_i16_e32 vcc, -1, v3
	v_lshl_add_u32 v11, v11, 2, v2
	v_cndmask_b32_e32 v12, -1, v19, vcc
	ds_read_u16 v2, v11
	v_xor_b32_e32 v12, v12, v3
	v_cmp_ne_u16_e32 vcc, s8, v12
	v_cndmask_b32_e32 v12, v19, v12, vcc
	v_lshlrev_b32_sdwa v12, s4, v12 dst_sel:DWORD dst_unused:UNUSED_PAD src0_sel:DWORD src1_sel:WORD_0
	v_bfe_u32 v12, v12, s5, 16
	s_waitcnt lgkmcnt(0)
	v_add_u16_e32 v14, 1, v2
	v_cndmask_b32_e64 v12, v12, 0, s[0:1]
	ds_write_b16 v11, v14
	v_and_b32_e32 v14, 7, v12
	v_lshrrev_b32_e32 v12, 2, v12
	;; [unrolled: 34-line block ×3, first 2 shown]
	v_mad_u32_u24 v17, v17, s9, v0
	v_and_b32_e32 v16, 0x3ffe, v16
	v_cmp_gt_i16_sdwa vcc, v4, v18 src0_sel:WORD_1 src1_sel:DWORD
	v_lshl_add_u32 v17, v17, 2, v16
	v_cndmask_b32_e32 v18, -1, v19, vcc
	ds_read_u16 v16, v17
	v_xor_b32_sdwa v4, v18, v4 dst_sel:DWORD dst_unused:UNUSED_PAD src0_sel:DWORD src1_sel:WORD_1
	v_cmp_ne_u16_e32 vcc, s8, v4
	v_cndmask_b32_e32 v4, v19, v4, vcc
	v_lshlrev_b32_sdwa v4, s4, v4 dst_sel:DWORD dst_unused:UNUSED_PAD src0_sel:DWORD src1_sel:WORD_0
	v_bfe_u32 v4, v4, s5, 16
	s_waitcnt lgkmcnt(0)
	v_add_u16_e32 v18, 1, v16
	v_cndmask_b32_e64 v4, v4, 0, s[0:1]
	s_waitcnt vmcnt(0)
	v_cmp_lt_i16_e32 vcc, -1, v13
	ds_write_b16 v17, v18
	v_and_b32_e32 v18, 7, v4
	v_lshrrev_b32_e32 v4, 2, v4
	v_cndmask_b32_e32 v20, -1, v19, vcc
	v_mad_u32_u24 v18, v18, s9, v0
	v_and_b32_e32 v4, 0x3ffe, v4
	v_xor_b32_e32 v13, v20, v13
	v_lshl_add_u32 v18, v18, 2, v4
	v_cmp_ne_u16_e32 vcc, s8, v13
	ds_read_u16 v4, v18
	v_cndmask_b32_e32 v13, v19, v13, vcc
	v_lshlrev_b32_sdwa v13, s4, v13 dst_sel:DWORD dst_unused:UNUSED_PAD src0_sel:DWORD src1_sel:WORD_0
	v_bfe_u32 v13, v13, s5, 16
	v_cndmask_b32_e64 v13, v13, 0, s[0:1]
	v_and_b32_e32 v19, 7, v13
	v_lshrrev_b32_e32 v13, 2, v13
	s_waitcnt lgkmcnt(0)
	v_add_u16_e32 v20, 1, v4
	v_mad_u32_u24 v19, v19, s9, v0
	v_and_b32_e32 v13, 0x3ffe, v13
	ds_write_b16 v18, v20
	v_lshl_add_u32 v19, v19, 2, v13
	ds_read_u16 v13, v19
	s_waitcnt lgkmcnt(0)
	v_add_u16_e32 v20, 1, v13
	ds_write_b16 v19, v20
	v_lshlrev_b32_e32 v20, 5, v0
	s_waitcnt lgkmcnt(0)
	s_barrier
	ds_read_b128 v[21:24], v20
	ds_read_b128 v[25:28], v20 offset:16
	s_waitcnt lgkmcnt(1)
	v_add_u32_e32 v21, v22, v21
	v_add3_u32 v21, v21, v23, v24
	s_waitcnt lgkmcnt(0)
	v_add3_u32 v21, v21, v25, v26
	v_add3_u32 v22, v21, v27, v28
	v_mbcnt_lo_u32_b32 v21, -1, 0
	v_mbcnt_hi_u32_b32 v21, -1, v21
	v_and_b32_e32 v23, 15, v21
	v_mov_b32_dpp v24, v22 row_shr:1 row_mask:0xf bank_mask:0xf
	v_cmp_ne_u32_e32 vcc, 0, v23
	v_cndmask_b32_e32 v24, 0, v24, vcc
	v_add_u32_e32 v22, v24, v22
	v_cmp_lt_u32_e32 vcc, 1, v23
	s_nop 0
	v_mov_b32_dpp v24, v22 row_shr:2 row_mask:0xf bank_mask:0xf
	v_cndmask_b32_e32 v24, 0, v24, vcc
	v_add_u32_e32 v22, v22, v24
	v_cmp_lt_u32_e32 vcc, 3, v23
	s_nop 0
	v_mov_b32_dpp v24, v22 row_shr:4 row_mask:0xf bank_mask:0xf
	;; [unrolled: 5-line block ×3, first 2 shown]
	v_cndmask_b32_e32 v23, 0, v24, vcc
	v_add_u32_e32 v22, v22, v23
	v_bfe_i32 v24, v21, 4, 1
	v_cmp_lt_u32_e32 vcc, 31, v21
	v_mov_b32_dpp v23, v22 row_bcast:15 row_mask:0xf bank_mask:0xf
	v_and_b32_e32 v23, v24, v23
	v_add_u32_e32 v22, v22, v23
	v_and_b32_e32 v24, 0xc0, v0
	v_min_u32_e32 v24, 0xaa, v24
	v_mov_b32_dpp v23, v22 row_bcast:31 row_mask:0xf bank_mask:0xf
	v_cndmask_b32_e32 v23, 0, v23, vcc
	v_add_u32_e32 v22, v22, v23
	v_lshrrev_b32_e32 v23, 6, v0
	v_add_u32_e32 v24, 63, v24
	v_cmp_eq_u32_e32 vcc, v0, v24
	v_lshlrev_b32_e32 v23, 2, v23
	s_and_saveexec_b64 s[0:1], vcc
; %bb.6:
	ds_write_b32 v23, v22 offset:7488
; %bb.7:
	s_or_b64 exec, exec, s[0:1]
	v_cmp_gt_u32_e32 vcc, 4, v0
	s_waitcnt lgkmcnt(0)
	s_barrier
	s_and_saveexec_b64 s[0:1], vcc
	s_cbranch_execz .LBB6_9
; %bb.8:
	s_movk_i32 s4, 0xffe4
	v_mad_i32_i24 v24, v0, s4, v20
	ds_read_b32 v25, v24 offset:7488
	v_and_b32_e32 v26, 3, v21
	v_cmp_ne_u32_e32 vcc, 0, v26
	s_waitcnt lgkmcnt(0)
	v_mov_b32_dpp v27, v25 row_shr:1 row_mask:0xf bank_mask:0xf
	v_cndmask_b32_e32 v27, 0, v27, vcc
	v_add_u32_e32 v25, v27, v25
	v_cmp_lt_u32_e32 vcc, 1, v26
	s_nop 0
	v_mov_b32_dpp v27, v25 row_shr:2 row_mask:0xf bank_mask:0xf
	v_cndmask_b32_e32 v26, 0, v27, vcc
	v_add_u32_e32 v25, v25, v26
	ds_write_b32 v24, v25 offset:7488
.LBB6_9:
	s_or_b64 exec, exec, s[0:1]
	v_cmp_lt_u32_e32 vcc, 63, v0
	v_mov_b32_e32 v24, 0
	v_mov_b32_e32 v0, 0
	s_waitcnt lgkmcnt(0)
	s_barrier
	s_and_saveexec_b64 s[0:1], vcc
; %bb.10:
	ds_read_b32 v0, v23 offset:7484
; %bb.11:
	s_or_b64 exec, exec, s[0:1]
	v_subrev_co_u32_e32 v23, vcc, 1, v21
	v_and_b32_e32 v25, 64, v21
	v_cmp_lt_i32_e64 s[0:1], v23, v25
	v_cndmask_b32_e64 v21, v23, v21, s[0:1]
	s_waitcnt lgkmcnt(0)
	v_add_u32_e32 v22, v0, v22
	v_lshlrev_b32_e32 v21, 2, v21
	ds_bpermute_b32 v25, v21, v22
	ds_read_b32 v26, v24 offset:7500
	ds_read_b128 v[21:24], v20
	ds_read_b96 v[29:31], v20 offset:16
	s_lshl_b64 s[0:1], s[6:7], 2
	s_add_u32 s0, s2, s0
	s_waitcnt lgkmcnt(3)
	v_cndmask_b32_e32 v0, v25, v0, vcc
	s_waitcnt lgkmcnt(2)
	v_lshl_add_u32 v25, v26, 16, v0
	s_waitcnt lgkmcnt(1)
	v_add_u32_e32 v26, v25, v21
	v_add_u32_e32 v27, v22, v26
	;; [unrolled: 1-line block ×4, first 2 shown]
	s_waitcnt lgkmcnt(0)
	v_add_u32_e32 v22, v29, v21
	v_add_u32_e32 v23, v30, v22
	;; [unrolled: 1-line block ×3, first 2 shown]
	ds_write_b128 v20, v[25:28]
	ds_write_b128 v20, v[21:24] offset:16
	s_waitcnt lgkmcnt(0)
	s_barrier
	ds_read_u16 v0, v7
	ds_read_u16 v7, v8
	;; [unrolled: 1-line block ×8, first 2 shown]
	s_waitcnt lgkmcnt(5)
	v_add_u32_sdwa v8, v8, v9 dst_sel:DWORD dst_unused:UNUSED_PAD src0_sel:DWORD src1_sel:WORD_0
	s_waitcnt lgkmcnt(4)
	v_add_u32_sdwa v9, v10, v2 dst_sel:DWORD dst_unused:UNUSED_PAD src0_sel:DWORD src1_sel:WORD_0
	ds_read_u16 v10, v19
	v_add_u32_sdwa v6, v0, v6 dst_sel:DWORD dst_unused:UNUSED_PAD src0_sel:DWORD src1_sel:WORD_0
	v_add_u32_sdwa v7, v7, v1 dst_sel:DWORD dst_unused:UNUSED_PAD src0_sel:DWORD src1_sel:WORD_0
	s_addc_u32 s1, s3, s1
	v_lshlrev_b32_e32 v5, 2, v5
	s_waitcnt lgkmcnt(4)
	v_add_u32_sdwa v0, v11, v12 dst_sel:DWORD dst_unused:UNUSED_PAD src0_sel:DWORD src1_sel:WORD_0
	s_waitcnt lgkmcnt(3)
	v_add_u32_sdwa v1, v14, v3 dst_sel:DWORD dst_unused:UNUSED_PAD src0_sel:DWORD src1_sel:WORD_0
	;; [unrolled: 2-line block ×5, first 2 shown]
	global_store_dwordx4 v5, v[6:9], s[0:1]
	global_store_dwordx4 v5, v[0:3], s[0:1] offset:16
	global_store_dword v5, v4, s[0:1] offset:32
	s_endpgm
	.section	.rodata,"a",@progbits
	.p2align	6, 0x0
	.amdhsa_kernel _Z11rank_kernelILj234ELj9ELj4ELb0EL18RadixRankAlgorithm0E12hip_bfloat16EvPKT4_Pijj
		.amdhsa_group_segment_fixed_size 8432
		.amdhsa_private_segment_fixed_size 0
		.amdhsa_kernarg_size 24
		.amdhsa_user_sgpr_count 6
		.amdhsa_user_sgpr_private_segment_buffer 1
		.amdhsa_user_sgpr_dispatch_ptr 0
		.amdhsa_user_sgpr_queue_ptr 0
		.amdhsa_user_sgpr_kernarg_segment_ptr 1
		.amdhsa_user_sgpr_dispatch_id 0
		.amdhsa_user_sgpr_flat_scratch_init 0
		.amdhsa_user_sgpr_private_segment_size 0
		.amdhsa_uses_dynamic_stack 0
		.amdhsa_system_sgpr_private_segment_wavefront_offset 0
		.amdhsa_system_sgpr_workgroup_id_x 1
		.amdhsa_system_sgpr_workgroup_id_y 0
		.amdhsa_system_sgpr_workgroup_id_z 0
		.amdhsa_system_sgpr_workgroup_info 0
		.amdhsa_system_vgpr_workitem_id 0
		.amdhsa_next_free_vgpr 33
		.amdhsa_next_free_sgpr 77
		.amdhsa_reserve_vcc 1
		.amdhsa_reserve_flat_scratch 0
		.amdhsa_float_round_mode_32 0
		.amdhsa_float_round_mode_16_64 0
		.amdhsa_float_denorm_mode_32 3
		.amdhsa_float_denorm_mode_16_64 3
		.amdhsa_dx10_clamp 1
		.amdhsa_ieee_mode 1
		.amdhsa_fp16_overflow 0
		.amdhsa_exception_fp_ieee_invalid_op 0
		.amdhsa_exception_fp_denorm_src 0
		.amdhsa_exception_fp_ieee_div_zero 0
		.amdhsa_exception_fp_ieee_overflow 0
		.amdhsa_exception_fp_ieee_underflow 0
		.amdhsa_exception_fp_ieee_inexact 0
		.amdhsa_exception_int_div_zero 0
	.end_amdhsa_kernel
	.section	.text._Z11rank_kernelILj234ELj9ELj4ELb0EL18RadixRankAlgorithm0E12hip_bfloat16EvPKT4_Pijj,"axG",@progbits,_Z11rank_kernelILj234ELj9ELj4ELb0EL18RadixRankAlgorithm0E12hip_bfloat16EvPKT4_Pijj,comdat
.Lfunc_end6:
	.size	_Z11rank_kernelILj234ELj9ELj4ELb0EL18RadixRankAlgorithm0E12hip_bfloat16EvPKT4_Pijj, .Lfunc_end6-_Z11rank_kernelILj234ELj9ELj4ELb0EL18RadixRankAlgorithm0E12hip_bfloat16EvPKT4_Pijj
                                        ; -- End function
	.set _Z11rank_kernelILj234ELj9ELj4ELb0EL18RadixRankAlgorithm0E12hip_bfloat16EvPKT4_Pijj.num_vgpr, 32
	.set _Z11rank_kernelILj234ELj9ELj4ELb0EL18RadixRankAlgorithm0E12hip_bfloat16EvPKT4_Pijj.num_agpr, 0
	.set _Z11rank_kernelILj234ELj9ELj4ELb0EL18RadixRankAlgorithm0E12hip_bfloat16EvPKT4_Pijj.numbered_sgpr, 10
	.set _Z11rank_kernelILj234ELj9ELj4ELb0EL18RadixRankAlgorithm0E12hip_bfloat16EvPKT4_Pijj.num_named_barrier, 0
	.set _Z11rank_kernelILj234ELj9ELj4ELb0EL18RadixRankAlgorithm0E12hip_bfloat16EvPKT4_Pijj.private_seg_size, 0
	.set _Z11rank_kernelILj234ELj9ELj4ELb0EL18RadixRankAlgorithm0E12hip_bfloat16EvPKT4_Pijj.uses_vcc, 1
	.set _Z11rank_kernelILj234ELj9ELj4ELb0EL18RadixRankAlgorithm0E12hip_bfloat16EvPKT4_Pijj.uses_flat_scratch, 0
	.set _Z11rank_kernelILj234ELj9ELj4ELb0EL18RadixRankAlgorithm0E12hip_bfloat16EvPKT4_Pijj.has_dyn_sized_stack, 0
	.set _Z11rank_kernelILj234ELj9ELj4ELb0EL18RadixRankAlgorithm0E12hip_bfloat16EvPKT4_Pijj.has_recursion, 0
	.set _Z11rank_kernelILj234ELj9ELj4ELb0EL18RadixRankAlgorithm0E12hip_bfloat16EvPKT4_Pijj.has_indirect_call, 0
	.section	.AMDGPU.csdata,"",@progbits
; Kernel info:
; codeLenInByte = 1964
; TotalNumSgprs: 14
; NumVgprs: 32
; ScratchSize: 0
; MemoryBound: 0
; FloatMode: 240
; IeeeMode: 1
; LDSByteSize: 8432 bytes/workgroup (compile time only)
; SGPRBlocks: 10
; VGPRBlocks: 8
; NumSGPRsForWavesPerEU: 81
; NumVGPRsForWavesPerEU: 33
; Occupancy: 7
; WaveLimiterHint : 0
; COMPUTE_PGM_RSRC2:SCRATCH_EN: 0
; COMPUTE_PGM_RSRC2:USER_SGPR: 6
; COMPUTE_PGM_RSRC2:TRAP_HANDLER: 0
; COMPUTE_PGM_RSRC2:TGID_X_EN: 1
; COMPUTE_PGM_RSRC2:TGID_Y_EN: 0
; COMPUTE_PGM_RSRC2:TGID_Z_EN: 0
; COMPUTE_PGM_RSRC2:TIDIG_COMP_CNT: 0
	.section	.text._Z11rank_kernelILj234ELj9ELj4ELb0EL18RadixRankAlgorithm0E6__halfEvPKT4_Pijj,"axG",@progbits,_Z11rank_kernelILj234ELj9ELj4ELb0EL18RadixRankAlgorithm0E6__halfEvPKT4_Pijj,comdat
	.protected	_Z11rank_kernelILj234ELj9ELj4ELb0EL18RadixRankAlgorithm0E6__halfEvPKT4_Pijj ; -- Begin function _Z11rank_kernelILj234ELj9ELj4ELb0EL18RadixRankAlgorithm0E6__halfEvPKT4_Pijj
	.globl	_Z11rank_kernelILj234ELj9ELj4ELb0EL18RadixRankAlgorithm0E6__halfEvPKT4_Pijj
	.p2align	8
	.type	_Z11rank_kernelILj234ELj9ELj4ELb0EL18RadixRankAlgorithm0E6__halfEvPKT4_Pijj,@function
_Z11rank_kernelILj234ELj9ELj4ELb0EL18RadixRankAlgorithm0E6__halfEvPKT4_Pijj: ; @_Z11rank_kernelILj234ELj9ELj4ELb0EL18RadixRankAlgorithm0E6__halfEvPKT4_Pijj
; %bb.0:
	s_load_dwordx4 s[0:3], s[4:5], 0x0
	s_mulk_i32 s6, 0x83a
	s_mov_b32 s7, 0
	s_lshl_b64 s[8:9], s[6:7], 1
	v_mul_u32_u24_e32 v5, 9, v0
	s_waitcnt lgkmcnt(0)
	s_add_u32 s0, s0, s8
	s_addc_u32 s1, s1, s9
	v_lshlrev_b32_e32 v6, 1, v5
	global_load_dwordx4 v[1:4], v6, s[0:1]
	global_load_ushort v13, v6, s[0:1] offset:16
	v_lshlrev_b32_e32 v6, 2, v0
	s_movk_i32 s0, 0x3a8
	v_mov_b32_e32 v7, 0
	v_add_u32_e32 v8, 0x700, v6
	v_cmp_gt_u32_e32 vcc, s0, v0
	ds_write2_b32 v6, v7, v7 offset1:234
	ds_write2_b32 v8, v7, v7 offset0:20 offset1:254
	s_and_saveexec_b64 s[0:1], vcc
	s_cbranch_execz .LBB7_5
; %bb.1:
	s_movk_i32 s8, 0x2be
	v_cmp_gt_u32_e32 vcc, s8, v0
	ds_write_b32 v6, v7 offset:3744
	s_and_b64 exec, exec, vcc
	s_cbranch_execz .LBB7_5
; %bb.2:
	s_movk_i32 s8, 0x1d4
	v_mov_b32_e32 v7, 0
	v_cmp_gt_u32_e32 vcc, s8, v0
	ds_write_b32 v6, v7 offset:4680
	s_and_b64 exec, exec, vcc
	s_cbranch_execz .LBB7_5
; %bb.3:
	s_movk_i32 s8, 0xea
	v_cmp_gt_u32_e32 vcc, s8, v0
	ds_write_b32 v6, v7 offset:5616
	s_and_b64 exec, exec, vcc
; %bb.4:
	v_mov_b32_e32 v7, 0
	ds_write_b32 v6, v7 offset:6552
.LBB7_5:
	s_or_b64 exec, exec, s[0:1]
	s_load_dwordx2 s[4:5], s[4:5], 0x10
	v_mov_b32_e32 v19, 0xffff8000
	s_waitcnt vmcnt(1)
	v_cmp_lt_i16_e32 vcc, -1, v1
	v_cndmask_b32_e32 v6, -1, v19, vcc
	v_xor_b32_e32 v6, v6, v1
	s_waitcnt lgkmcnt(0)
	s_and_b32 s5, s5, 31
	s_cmp_eq_u32 s5, 0
	s_cselect_b64 s[0:1], -1, 0
	s_and_b32 s4, s4, 31
	s_movk_i32 s8, 0x7fff
	s_add_i32 s4, s4, s5
	v_cmp_ne_u16_e32 vcc, s8, v6
	s_sub_i32 s4, 32, s4
	v_cndmask_b32_e32 v6, v19, v6, vcc
	s_sub_i32 s5, 32, s5
	v_lshlrev_b32_sdwa v6, s4, v6 dst_sel:DWORD dst_unused:UNUSED_PAD src0_sel:DWORD src1_sel:WORD_0
	v_bfe_u32 v6, v6, s5, 16
	v_cndmask_b32_e64 v6, v6, 0, s[0:1]
	v_and_b32_e32 v7, 7, v6
	s_movk_i32 s9, 0xea
	v_lshrrev_b32_e32 v6, 2, v6
	v_mov_b32_e32 v18, -1
	v_mad_u32_u24 v7, v7, s9, v0
	v_and_b32_e32 v6, 0x3ffe, v6
	v_cmp_gt_i16_sdwa vcc, v1, v18 src0_sel:WORD_1 src1_sel:DWORD
	v_lshl_add_u32 v7, v7, 2, v6
	v_cndmask_b32_e32 v8, -1, v19, vcc
	ds_read_u16 v6, v7
	v_xor_b32_sdwa v1, v8, v1 dst_sel:DWORD dst_unused:UNUSED_PAD src0_sel:DWORD src1_sel:WORD_1
	v_cmp_ne_u16_e32 vcc, s8, v1
	v_cndmask_b32_e32 v1, v19, v1, vcc
	v_lshlrev_b32_sdwa v1, s4, v1 dst_sel:DWORD dst_unused:UNUSED_PAD src0_sel:DWORD src1_sel:WORD_0
	v_bfe_u32 v1, v1, s5, 16
	s_waitcnt lgkmcnt(0)
	v_add_u16_e32 v8, 1, v6
	v_cndmask_b32_e64 v1, v1, 0, s[0:1]
	ds_write_b16 v7, v8
	v_and_b32_e32 v8, 7, v1
	v_lshrrev_b32_e32 v1, 2, v1
	v_mad_u32_u24 v8, v8, s9, v0
	v_and_b32_e32 v1, 0x3ffe, v1
	v_cmp_lt_i16_e32 vcc, -1, v2
	v_lshl_add_u32 v8, v8, 2, v1
	v_cndmask_b32_e32 v9, -1, v19, vcc
	ds_read_u16 v1, v8
	v_xor_b32_e32 v9, v9, v2
	v_cmp_ne_u16_e32 vcc, s8, v9
	v_cndmask_b32_e32 v9, v19, v9, vcc
	v_lshlrev_b32_sdwa v9, s4, v9 dst_sel:DWORD dst_unused:UNUSED_PAD src0_sel:DWORD src1_sel:WORD_0
	v_bfe_u32 v9, v9, s5, 16
	s_waitcnt lgkmcnt(0)
	v_add_u16_e32 v10, 1, v1
	v_cndmask_b32_e64 v9, v9, 0, s[0:1]
	ds_write_b16 v8, v10
	v_and_b32_e32 v10, 7, v9
	v_lshrrev_b32_e32 v9, 2, v9
	v_mad_u32_u24 v10, v10, s9, v0
	v_and_b32_e32 v9, 0x3ffe, v9
	v_cmp_gt_i16_sdwa vcc, v2, v18 src0_sel:WORD_1 src1_sel:DWORD
	v_lshl_add_u32 v10, v10, 2, v9
	v_cndmask_b32_e32 v11, -1, v19, vcc
	ds_read_u16 v9, v10
	v_xor_b32_sdwa v2, v11, v2 dst_sel:DWORD dst_unused:UNUSED_PAD src0_sel:DWORD src1_sel:WORD_1
	v_cmp_ne_u16_e32 vcc, s8, v2
	v_cndmask_b32_e32 v2, v19, v2, vcc
	v_lshlrev_b32_sdwa v2, s4, v2 dst_sel:DWORD dst_unused:UNUSED_PAD src0_sel:DWORD src1_sel:WORD_0
	v_bfe_u32 v2, v2, s5, 16
	s_waitcnt lgkmcnt(0)
	v_add_u16_e32 v11, 1, v9
	v_cndmask_b32_e64 v2, v2, 0, s[0:1]
	ds_write_b16 v10, v11
	v_and_b32_e32 v11, 7, v2
	v_lshrrev_b32_e32 v2, 2, v2
	v_mad_u32_u24 v11, v11, s9, v0
	v_and_b32_e32 v2, 0x3ffe, v2
	v_cmp_lt_i16_e32 vcc, -1, v3
	v_lshl_add_u32 v11, v11, 2, v2
	v_cndmask_b32_e32 v12, -1, v19, vcc
	ds_read_u16 v2, v11
	v_xor_b32_e32 v12, v12, v3
	v_cmp_ne_u16_e32 vcc, s8, v12
	v_cndmask_b32_e32 v12, v19, v12, vcc
	v_lshlrev_b32_sdwa v12, s4, v12 dst_sel:DWORD dst_unused:UNUSED_PAD src0_sel:DWORD src1_sel:WORD_0
	v_bfe_u32 v12, v12, s5, 16
	s_waitcnt lgkmcnt(0)
	v_add_u16_e32 v14, 1, v2
	v_cndmask_b32_e64 v12, v12, 0, s[0:1]
	ds_write_b16 v11, v14
	v_and_b32_e32 v14, 7, v12
	v_lshrrev_b32_e32 v12, 2, v12
	v_mad_u32_u24 v14, v14, s9, v0
	v_and_b32_e32 v12, 0x3ffe, v12
	v_cmp_gt_i16_sdwa vcc, v3, v18 src0_sel:WORD_1 src1_sel:DWORD
	v_lshl_add_u32 v14, v14, 2, v12
	v_cndmask_b32_e32 v15, -1, v19, vcc
	ds_read_u16 v12, v14
	v_xor_b32_sdwa v3, v15, v3 dst_sel:DWORD dst_unused:UNUSED_PAD src0_sel:DWORD src1_sel:WORD_1
	v_cmp_ne_u16_e32 vcc, s8, v3
	v_cndmask_b32_e32 v3, v19, v3, vcc
	v_lshlrev_b32_sdwa v3, s4, v3 dst_sel:DWORD dst_unused:UNUSED_PAD src0_sel:DWORD src1_sel:WORD_0
	v_bfe_u32 v3, v3, s5, 16
	s_waitcnt lgkmcnt(0)
	v_add_u16_e32 v15, 1, v12
	v_cndmask_b32_e64 v3, v3, 0, s[0:1]
	ds_write_b16 v14, v15
	v_and_b32_e32 v15, 7, v3
	v_lshrrev_b32_e32 v3, 2, v3
	v_mad_u32_u24 v15, v15, s9, v0
	v_and_b32_e32 v3, 0x3ffe, v3
	v_cmp_lt_i16_e32 vcc, -1, v4
	v_lshl_add_u32 v15, v15, 2, v3
	v_cndmask_b32_e32 v16, -1, v19, vcc
	ds_read_u16 v3, v15
	v_xor_b32_e32 v16, v16, v4
	v_cmp_ne_u16_e32 vcc, s8, v16
	v_cndmask_b32_e32 v16, v19, v16, vcc
	v_lshlrev_b32_sdwa v16, s4, v16 dst_sel:DWORD dst_unused:UNUSED_PAD src0_sel:DWORD src1_sel:WORD_0
	v_bfe_u32 v16, v16, s5, 16
	s_waitcnt lgkmcnt(0)
	v_add_u16_e32 v17, 1, v3
	v_cndmask_b32_e64 v16, v16, 0, s[0:1]
	ds_write_b16 v15, v17
	v_and_b32_e32 v17, 7, v16
	v_lshrrev_b32_e32 v16, 2, v16
	v_mad_u32_u24 v17, v17, s9, v0
	v_and_b32_e32 v16, 0x3ffe, v16
	v_cmp_gt_i16_sdwa vcc, v4, v18 src0_sel:WORD_1 src1_sel:DWORD
	v_lshl_add_u32 v17, v17, 2, v16
	v_cndmask_b32_e32 v18, -1, v19, vcc
	ds_read_u16 v16, v17
	v_xor_b32_sdwa v4, v18, v4 dst_sel:DWORD dst_unused:UNUSED_PAD src0_sel:DWORD src1_sel:WORD_1
	v_cmp_ne_u16_e32 vcc, s8, v4
	v_cndmask_b32_e32 v4, v19, v4, vcc
	v_lshlrev_b32_sdwa v4, s4, v4 dst_sel:DWORD dst_unused:UNUSED_PAD src0_sel:DWORD src1_sel:WORD_0
	v_bfe_u32 v4, v4, s5, 16
	s_waitcnt lgkmcnt(0)
	v_add_u16_e32 v18, 1, v16
	v_cndmask_b32_e64 v4, v4, 0, s[0:1]
	s_waitcnt vmcnt(0)
	v_cmp_lt_i16_e32 vcc, -1, v13
	ds_write_b16 v17, v18
	v_and_b32_e32 v18, 7, v4
	v_lshrrev_b32_e32 v4, 2, v4
	v_cndmask_b32_e32 v20, -1, v19, vcc
	v_mad_u32_u24 v18, v18, s9, v0
	v_and_b32_e32 v4, 0x3ffe, v4
	v_xor_b32_e32 v13, v20, v13
	v_lshl_add_u32 v18, v18, 2, v4
	v_cmp_ne_u16_e32 vcc, s8, v13
	ds_read_u16 v4, v18
	v_cndmask_b32_e32 v13, v19, v13, vcc
	v_lshlrev_b32_sdwa v13, s4, v13 dst_sel:DWORD dst_unused:UNUSED_PAD src0_sel:DWORD src1_sel:WORD_0
	v_bfe_u32 v13, v13, s5, 16
	v_cndmask_b32_e64 v13, v13, 0, s[0:1]
	v_and_b32_e32 v19, 7, v13
	v_lshrrev_b32_e32 v13, 2, v13
	s_waitcnt lgkmcnt(0)
	v_add_u16_e32 v20, 1, v4
	v_mad_u32_u24 v19, v19, s9, v0
	v_and_b32_e32 v13, 0x3ffe, v13
	ds_write_b16 v18, v20
	v_lshl_add_u32 v19, v19, 2, v13
	ds_read_u16 v13, v19
	s_waitcnt lgkmcnt(0)
	v_add_u16_e32 v20, 1, v13
	ds_write_b16 v19, v20
	v_lshlrev_b32_e32 v20, 5, v0
	s_waitcnt lgkmcnt(0)
	s_barrier
	ds_read_b128 v[21:24], v20
	ds_read_b128 v[25:28], v20 offset:16
	s_waitcnt lgkmcnt(1)
	v_add_u32_e32 v21, v22, v21
	v_add3_u32 v21, v21, v23, v24
	s_waitcnt lgkmcnt(0)
	v_add3_u32 v21, v21, v25, v26
	v_add3_u32 v22, v21, v27, v28
	v_mbcnt_lo_u32_b32 v21, -1, 0
	v_mbcnt_hi_u32_b32 v21, -1, v21
	v_and_b32_e32 v23, 15, v21
	v_mov_b32_dpp v24, v22 row_shr:1 row_mask:0xf bank_mask:0xf
	v_cmp_ne_u32_e32 vcc, 0, v23
	v_cndmask_b32_e32 v24, 0, v24, vcc
	v_add_u32_e32 v22, v24, v22
	v_cmp_lt_u32_e32 vcc, 1, v23
	s_nop 0
	v_mov_b32_dpp v24, v22 row_shr:2 row_mask:0xf bank_mask:0xf
	v_cndmask_b32_e32 v24, 0, v24, vcc
	v_add_u32_e32 v22, v22, v24
	v_cmp_lt_u32_e32 vcc, 3, v23
	s_nop 0
	v_mov_b32_dpp v24, v22 row_shr:4 row_mask:0xf bank_mask:0xf
	;; [unrolled: 5-line block ×3, first 2 shown]
	v_cndmask_b32_e32 v23, 0, v24, vcc
	v_add_u32_e32 v22, v22, v23
	v_bfe_i32 v24, v21, 4, 1
	v_cmp_lt_u32_e32 vcc, 31, v21
	v_mov_b32_dpp v23, v22 row_bcast:15 row_mask:0xf bank_mask:0xf
	v_and_b32_e32 v23, v24, v23
	v_add_u32_e32 v22, v22, v23
	v_and_b32_e32 v24, 0xc0, v0
	v_min_u32_e32 v24, 0xaa, v24
	v_mov_b32_dpp v23, v22 row_bcast:31 row_mask:0xf bank_mask:0xf
	v_cndmask_b32_e32 v23, 0, v23, vcc
	v_add_u32_e32 v22, v22, v23
	v_lshrrev_b32_e32 v23, 6, v0
	v_add_u32_e32 v24, 63, v24
	v_cmp_eq_u32_e32 vcc, v0, v24
	v_lshlrev_b32_e32 v23, 2, v23
	s_and_saveexec_b64 s[0:1], vcc
; %bb.6:
	ds_write_b32 v23, v22 offset:7488
; %bb.7:
	s_or_b64 exec, exec, s[0:1]
	v_cmp_gt_u32_e32 vcc, 4, v0
	s_waitcnt lgkmcnt(0)
	s_barrier
	s_and_saveexec_b64 s[0:1], vcc
	s_cbranch_execz .LBB7_9
; %bb.8:
	s_movk_i32 s4, 0xffe4
	v_mad_i32_i24 v24, v0, s4, v20
	ds_read_b32 v25, v24 offset:7488
	v_and_b32_e32 v26, 3, v21
	v_cmp_ne_u32_e32 vcc, 0, v26
	s_waitcnt lgkmcnt(0)
	v_mov_b32_dpp v27, v25 row_shr:1 row_mask:0xf bank_mask:0xf
	v_cndmask_b32_e32 v27, 0, v27, vcc
	v_add_u32_e32 v25, v27, v25
	v_cmp_lt_u32_e32 vcc, 1, v26
	s_nop 0
	v_mov_b32_dpp v27, v25 row_shr:2 row_mask:0xf bank_mask:0xf
	v_cndmask_b32_e32 v26, 0, v27, vcc
	v_add_u32_e32 v25, v25, v26
	ds_write_b32 v24, v25 offset:7488
.LBB7_9:
	s_or_b64 exec, exec, s[0:1]
	v_cmp_lt_u32_e32 vcc, 63, v0
	v_mov_b32_e32 v24, 0
	v_mov_b32_e32 v0, 0
	s_waitcnt lgkmcnt(0)
	s_barrier
	s_and_saveexec_b64 s[0:1], vcc
; %bb.10:
	ds_read_b32 v0, v23 offset:7484
; %bb.11:
	s_or_b64 exec, exec, s[0:1]
	v_subrev_co_u32_e32 v23, vcc, 1, v21
	v_and_b32_e32 v25, 64, v21
	v_cmp_lt_i32_e64 s[0:1], v23, v25
	v_cndmask_b32_e64 v21, v23, v21, s[0:1]
	s_waitcnt lgkmcnt(0)
	v_add_u32_e32 v22, v0, v22
	v_lshlrev_b32_e32 v21, 2, v21
	ds_bpermute_b32 v25, v21, v22
	ds_read_b32 v26, v24 offset:7500
	ds_read_b128 v[21:24], v20
	ds_read_b96 v[29:31], v20 offset:16
	s_lshl_b64 s[0:1], s[6:7], 2
	s_add_u32 s0, s2, s0
	s_waitcnt lgkmcnt(3)
	v_cndmask_b32_e32 v0, v25, v0, vcc
	s_waitcnt lgkmcnt(2)
	v_lshl_add_u32 v25, v26, 16, v0
	s_waitcnt lgkmcnt(1)
	v_add_u32_e32 v26, v25, v21
	v_add_u32_e32 v27, v22, v26
	;; [unrolled: 1-line block ×4, first 2 shown]
	s_waitcnt lgkmcnt(0)
	v_add_u32_e32 v22, v29, v21
	v_add_u32_e32 v23, v30, v22
	v_add_u32_e32 v24, v31, v23
	ds_write_b128 v20, v[25:28]
	ds_write_b128 v20, v[21:24] offset:16
	s_waitcnt lgkmcnt(0)
	s_barrier
	ds_read_u16 v0, v7
	ds_read_u16 v7, v8
	;; [unrolled: 1-line block ×8, first 2 shown]
	s_waitcnt lgkmcnt(5)
	v_add_u32_sdwa v8, v8, v9 dst_sel:DWORD dst_unused:UNUSED_PAD src0_sel:DWORD src1_sel:WORD_0
	s_waitcnt lgkmcnt(4)
	v_add_u32_sdwa v9, v10, v2 dst_sel:DWORD dst_unused:UNUSED_PAD src0_sel:DWORD src1_sel:WORD_0
	ds_read_u16 v10, v19
	v_add_u32_sdwa v6, v0, v6 dst_sel:DWORD dst_unused:UNUSED_PAD src0_sel:DWORD src1_sel:WORD_0
	v_add_u32_sdwa v7, v7, v1 dst_sel:DWORD dst_unused:UNUSED_PAD src0_sel:DWORD src1_sel:WORD_0
	s_addc_u32 s1, s3, s1
	v_lshlrev_b32_e32 v5, 2, v5
	s_waitcnt lgkmcnt(4)
	v_add_u32_sdwa v0, v11, v12 dst_sel:DWORD dst_unused:UNUSED_PAD src0_sel:DWORD src1_sel:WORD_0
	s_waitcnt lgkmcnt(3)
	v_add_u32_sdwa v1, v14, v3 dst_sel:DWORD dst_unused:UNUSED_PAD src0_sel:DWORD src1_sel:WORD_0
	;; [unrolled: 2-line block ×5, first 2 shown]
	global_store_dwordx4 v5, v[6:9], s[0:1]
	global_store_dwordx4 v5, v[0:3], s[0:1] offset:16
	global_store_dword v5, v4, s[0:1] offset:32
	s_endpgm
	.section	.rodata,"a",@progbits
	.p2align	6, 0x0
	.amdhsa_kernel _Z11rank_kernelILj234ELj9ELj4ELb0EL18RadixRankAlgorithm0E6__halfEvPKT4_Pijj
		.amdhsa_group_segment_fixed_size 8432
		.amdhsa_private_segment_fixed_size 0
		.amdhsa_kernarg_size 24
		.amdhsa_user_sgpr_count 6
		.amdhsa_user_sgpr_private_segment_buffer 1
		.amdhsa_user_sgpr_dispatch_ptr 0
		.amdhsa_user_sgpr_queue_ptr 0
		.amdhsa_user_sgpr_kernarg_segment_ptr 1
		.amdhsa_user_sgpr_dispatch_id 0
		.amdhsa_user_sgpr_flat_scratch_init 0
		.amdhsa_user_sgpr_private_segment_size 0
		.amdhsa_uses_dynamic_stack 0
		.amdhsa_system_sgpr_private_segment_wavefront_offset 0
		.amdhsa_system_sgpr_workgroup_id_x 1
		.amdhsa_system_sgpr_workgroup_id_y 0
		.amdhsa_system_sgpr_workgroup_id_z 0
		.amdhsa_system_sgpr_workgroup_info 0
		.amdhsa_system_vgpr_workitem_id 0
		.amdhsa_next_free_vgpr 33
		.amdhsa_next_free_sgpr 77
		.amdhsa_reserve_vcc 1
		.amdhsa_reserve_flat_scratch 0
		.amdhsa_float_round_mode_32 0
		.amdhsa_float_round_mode_16_64 0
		.amdhsa_float_denorm_mode_32 3
		.amdhsa_float_denorm_mode_16_64 3
		.amdhsa_dx10_clamp 1
		.amdhsa_ieee_mode 1
		.amdhsa_fp16_overflow 0
		.amdhsa_exception_fp_ieee_invalid_op 0
		.amdhsa_exception_fp_denorm_src 0
		.amdhsa_exception_fp_ieee_div_zero 0
		.amdhsa_exception_fp_ieee_overflow 0
		.amdhsa_exception_fp_ieee_underflow 0
		.amdhsa_exception_fp_ieee_inexact 0
		.amdhsa_exception_int_div_zero 0
	.end_amdhsa_kernel
	.section	.text._Z11rank_kernelILj234ELj9ELj4ELb0EL18RadixRankAlgorithm0E6__halfEvPKT4_Pijj,"axG",@progbits,_Z11rank_kernelILj234ELj9ELj4ELb0EL18RadixRankAlgorithm0E6__halfEvPKT4_Pijj,comdat
.Lfunc_end7:
	.size	_Z11rank_kernelILj234ELj9ELj4ELb0EL18RadixRankAlgorithm0E6__halfEvPKT4_Pijj, .Lfunc_end7-_Z11rank_kernelILj234ELj9ELj4ELb0EL18RadixRankAlgorithm0E6__halfEvPKT4_Pijj
                                        ; -- End function
	.set _Z11rank_kernelILj234ELj9ELj4ELb0EL18RadixRankAlgorithm0E6__halfEvPKT4_Pijj.num_vgpr, 32
	.set _Z11rank_kernelILj234ELj9ELj4ELb0EL18RadixRankAlgorithm0E6__halfEvPKT4_Pijj.num_agpr, 0
	.set _Z11rank_kernelILj234ELj9ELj4ELb0EL18RadixRankAlgorithm0E6__halfEvPKT4_Pijj.numbered_sgpr, 10
	.set _Z11rank_kernelILj234ELj9ELj4ELb0EL18RadixRankAlgorithm0E6__halfEvPKT4_Pijj.num_named_barrier, 0
	.set _Z11rank_kernelILj234ELj9ELj4ELb0EL18RadixRankAlgorithm0E6__halfEvPKT4_Pijj.private_seg_size, 0
	.set _Z11rank_kernelILj234ELj9ELj4ELb0EL18RadixRankAlgorithm0E6__halfEvPKT4_Pijj.uses_vcc, 1
	.set _Z11rank_kernelILj234ELj9ELj4ELb0EL18RadixRankAlgorithm0E6__halfEvPKT4_Pijj.uses_flat_scratch, 0
	.set _Z11rank_kernelILj234ELj9ELj4ELb0EL18RadixRankAlgorithm0E6__halfEvPKT4_Pijj.has_dyn_sized_stack, 0
	.set _Z11rank_kernelILj234ELj9ELj4ELb0EL18RadixRankAlgorithm0E6__halfEvPKT4_Pijj.has_recursion, 0
	.set _Z11rank_kernelILj234ELj9ELj4ELb0EL18RadixRankAlgorithm0E6__halfEvPKT4_Pijj.has_indirect_call, 0
	.section	.AMDGPU.csdata,"",@progbits
; Kernel info:
; codeLenInByte = 1964
; TotalNumSgprs: 14
; NumVgprs: 32
; ScratchSize: 0
; MemoryBound: 0
; FloatMode: 240
; IeeeMode: 1
; LDSByteSize: 8432 bytes/workgroup (compile time only)
; SGPRBlocks: 10
; VGPRBlocks: 8
; NumSGPRsForWavesPerEU: 81
; NumVGPRsForWavesPerEU: 33
; Occupancy: 7
; WaveLimiterHint : 0
; COMPUTE_PGM_RSRC2:SCRATCH_EN: 0
; COMPUTE_PGM_RSRC2:USER_SGPR: 6
; COMPUTE_PGM_RSRC2:TRAP_HANDLER: 0
; COMPUTE_PGM_RSRC2:TGID_X_EN: 1
; COMPUTE_PGM_RSRC2:TGID_Y_EN: 0
; COMPUTE_PGM_RSRC2:TGID_Z_EN: 0
; COMPUTE_PGM_RSRC2:TIDIG_COMP_CNT: 0
	.section	.text._Z11rank_kernelILj100ELj3ELj4ELb0EL18RadixRankAlgorithm0EtEvPKT4_Pijj,"axG",@progbits,_Z11rank_kernelILj100ELj3ELj4ELb0EL18RadixRankAlgorithm0EtEvPKT4_Pijj,comdat
	.protected	_Z11rank_kernelILj100ELj3ELj4ELb0EL18RadixRankAlgorithm0EtEvPKT4_Pijj ; -- Begin function _Z11rank_kernelILj100ELj3ELj4ELb0EL18RadixRankAlgorithm0EtEvPKT4_Pijj
	.globl	_Z11rank_kernelILj100ELj3ELj4ELb0EL18RadixRankAlgorithm0EtEvPKT4_Pijj
	.p2align	8
	.type	_Z11rank_kernelILj100ELj3ELj4ELb0EL18RadixRankAlgorithm0EtEvPKT4_Pijj,@function
_Z11rank_kernelILj100ELj3ELj4ELb0EL18RadixRankAlgorithm0EtEvPKT4_Pijj: ; @_Z11rank_kernelILj100ELj3ELj4ELb0EL18RadixRankAlgorithm0EtEvPKT4_Pijj
; %bb.0:
	s_load_dwordx4 s[0:3], s[4:5], 0x0
	s_mulk_i32 s6, 0x12c
	s_mov_b32 s7, 0
	s_lshl_b64 s[8:9], s[6:7], 1
	v_mul_u32_u24_e32 v1, 3, v0
	s_waitcnt lgkmcnt(0)
	s_add_u32 s0, s0, s8
	s_addc_u32 s1, s1, s9
	v_lshlrev_b32_e32 v2, 1, v1
	global_load_dword v4, v2, s[0:1]
	global_load_ushort v6, v2, s[0:1] offset:4
	s_movk_i32 s0, 0x320
	v_mov_b32_e32 v3, 0
	v_cmp_gt_u32_e32 vcc, s0, v0
	s_and_saveexec_b64 s[0:1], vcc
	s_cbranch_execz .LBB8_9
; %bb.1:
	s_movk_i32 s8, 0x2bc
	v_lshlrev_b32_e32 v2, 2, v0
	v_cmp_gt_u32_e32 vcc, s8, v0
	ds_write_b32 v2, v3
	s_and_b64 exec, exec, vcc
	s_cbranch_execz .LBB8_9
; %bb.2:
	s_movk_i32 s8, 0x258
	v_mov_b32_e32 v3, 0
	v_cmp_gt_u32_e32 vcc, s8, v0
	ds_write_b32 v2, v3 offset:400
	s_and_b64 exec, exec, vcc
	s_cbranch_execz .LBB8_9
; %bb.3:
	s_movk_i32 s8, 0x1f4
	v_cmp_gt_u32_e32 vcc, s8, v0
	ds_write_b32 v2, v3 offset:800
	s_and_b64 exec, exec, vcc
	s_cbranch_execz .LBB8_9
; %bb.4:
	s_movk_i32 s8, 0x190
	v_mov_b32_e32 v3, 0
	v_cmp_gt_u32_e32 vcc, s8, v0
	ds_write_b32 v2, v3 offset:1200
	s_and_b64 exec, exec, vcc
	s_cbranch_execz .LBB8_9
; %bb.5:
	s_movk_i32 s8, 0x12c
	v_cmp_gt_u32_e32 vcc, s8, v0
	ds_write_b32 v2, v3 offset:1600
	;; [unrolled: 13-line block ×3, first 2 shown]
	s_and_b64 exec, exec, vcc
; %bb.8:
	v_mov_b32_e32 v3, 0
	ds_write_b32 v2, v3 offset:2800
.LBB8_9:
	s_or_b64 exec, exec, s[0:1]
	s_load_dwordx2 s[0:1], s[4:5], 0x10
	s_movk_i32 s8, 0x64
	s_waitcnt lgkmcnt(0)
	s_and_b32 s1, s1, 31
	s_cmp_eq_u32 s1, 0
	s_cselect_b64 s[4:5], -1, 0
	s_and_b32 s0, s0, 31
	s_add_i32 s0, s0, s1
	s_sub_i32 s0, 32, s0
	s_sub_i32 s9, 32, s1
	s_waitcnt vmcnt(1)
	v_lshlrev_b32_sdwa v2, s0, v4 dst_sel:DWORD dst_unused:UNUSED_PAD src0_sel:DWORD src1_sel:WORD_0
	v_bfe_u32 v2, v2, s9, 16
	v_cndmask_b32_e64 v2, v2, 0, s[4:5]
	v_and_b32_e32 v3, 7, v2
	v_lshrrev_b32_e32 v2, 2, v2
	v_mad_u32_u24 v3, v3, s8, v0
	v_and_b32_e32 v2, 0x3ffe, v2
	v_lshl_add_u32 v3, v3, 2, v2
	ds_read_u16 v2, v3
	v_lshlrev_b32_sdwa v4, s0, v4 dst_sel:DWORD dst_unused:UNUSED_PAD src0_sel:DWORD src1_sel:WORD_1
	v_bfe_u32 v4, v4, s9, 16
	v_cndmask_b32_e64 v4, v4, 0, s[4:5]
	s_waitcnt vmcnt(0)
	v_lshlrev_b32_sdwa v6, s0, v6 dst_sel:DWORD dst_unused:UNUSED_PAD src0_sel:DWORD src1_sel:WORD_0
	s_waitcnt lgkmcnt(0)
	v_add_u16_e32 v5, 1, v2
	ds_write_b16 v3, v5
	v_and_b32_e32 v5, 7, v4
	v_lshrrev_b32_e32 v4, 2, v4
	v_mad_u32_u24 v5, v5, s8, v0
	v_and_b32_e32 v4, 0x3ffe, v4
	v_lshl_add_u32 v5, v5, 2, v4
	ds_read_u16 v4, v5
	v_bfe_u32 v6, v6, s9, 16
	v_cndmask_b32_e64 v6, v6, 0, s[4:5]
	s_waitcnt lgkmcnt(0)
	v_add_u16_e32 v7, 1, v4
	ds_write_b16 v5, v7
	v_and_b32_e32 v7, 7, v6
	v_lshrrev_b32_e32 v6, 2, v6
	v_mad_u32_u24 v7, v7, s8, v0
	v_and_b32_e32 v6, 0x3ffe, v6
	v_lshl_add_u32 v7, v7, 2, v6
	ds_read_u16 v6, v7
	s_waitcnt lgkmcnt(0)
	v_add_u16_e32 v8, 1, v6
	ds_write_b16 v7, v8
	v_lshlrev_b32_e32 v8, 5, v0
	s_waitcnt lgkmcnt(0)
	s_barrier
	ds_read_b128 v[9:12], v8
	ds_read_b128 v[13:16], v8 offset:16
	s_waitcnt lgkmcnt(1)
	v_add_u32_e32 v9, v10, v9
	v_add3_u32 v9, v9, v11, v12
	s_waitcnt lgkmcnt(0)
	v_add3_u32 v9, v9, v13, v14
	v_add3_u32 v10, v9, v15, v16
	v_mbcnt_lo_u32_b32 v9, -1, 0
	v_mbcnt_hi_u32_b32 v9, -1, v9
	v_and_b32_e32 v11, 15, v9
	v_mov_b32_dpp v12, v10 row_shr:1 row_mask:0xf bank_mask:0xf
	v_cmp_ne_u32_e32 vcc, 0, v11
	v_cndmask_b32_e32 v12, 0, v12, vcc
	v_add_u32_e32 v10, v12, v10
	v_cmp_lt_u32_e32 vcc, 1, v11
	s_nop 0
	v_mov_b32_dpp v12, v10 row_shr:2 row_mask:0xf bank_mask:0xf
	v_cndmask_b32_e32 v12, 0, v12, vcc
	v_add_u32_e32 v10, v10, v12
	v_cmp_lt_u32_e32 vcc, 3, v11
	s_nop 0
	v_mov_b32_dpp v12, v10 row_shr:4 row_mask:0xf bank_mask:0xf
	;; [unrolled: 5-line block ×3, first 2 shown]
	v_cndmask_b32_e32 v11, 0, v12, vcc
	v_add_u32_e32 v10, v10, v11
	v_bfe_i32 v12, v9, 4, 1
	v_cmp_lt_u32_e32 vcc, 31, v9
	v_mov_b32_dpp v11, v10 row_bcast:15 row_mask:0xf bank_mask:0xf
	v_and_b32_e32 v11, v12, v11
	v_add_u32_e32 v10, v10, v11
	v_and_b32_e32 v12, 64, v0
	v_min_u32_e32 v12, 36, v12
	v_mov_b32_dpp v11, v10 row_bcast:31 row_mask:0xf bank_mask:0xf
	v_cndmask_b32_e32 v11, 0, v11, vcc
	v_add_u32_e32 v10, v10, v11
	v_lshrrev_b32_e32 v11, 6, v0
	v_add_u32_e32 v12, 63, v12
	v_cmp_eq_u32_e32 vcc, v0, v12
	v_lshlrev_b32_e32 v11, 2, v11
	s_and_saveexec_b64 s[0:1], vcc
; %bb.10:
	ds_write_b32 v11, v10 offset:3200
; %bb.11:
	s_or_b64 exec, exec, s[0:1]
	v_cmp_gt_u32_e32 vcc, 2, v0
	s_waitcnt lgkmcnt(0)
	s_barrier
	s_and_saveexec_b64 s[0:1], vcc
	s_cbranch_execz .LBB8_13
; %bb.12:
	s_movk_i32 s4, 0xffe4
	v_mad_i32_i24 v12, v0, s4, v8
	ds_read_b32 v13, v12 offset:3200
	v_bfe_i32 v14, v9, 0, 1
	s_waitcnt lgkmcnt(0)
	v_mov_b32_dpp v15, v13 row_shr:1 row_mask:0xf bank_mask:0xf
	v_and_b32_e32 v14, v14, v15
	v_add_u32_e32 v13, v14, v13
	ds_write_b32 v12, v13 offset:3200
.LBB8_13:
	s_or_b64 exec, exec, s[0:1]
	v_cmp_lt_u32_e32 vcc, 63, v0
	v_mov_b32_e32 v12, 0
	v_mov_b32_e32 v0, 0
	s_waitcnt lgkmcnt(0)
	s_barrier
	s_and_saveexec_b64 s[0:1], vcc
; %bb.14:
	ds_read_b32 v0, v11 offset:3196
; %bb.15:
	s_or_b64 exec, exec, s[0:1]
	v_subrev_co_u32_e32 v11, vcc, 1, v9
	v_and_b32_e32 v13, 64, v9
	v_cmp_lt_i32_e64 s[0:1], v11, v13
	v_cndmask_b32_e64 v9, v11, v9, s[0:1]
	s_waitcnt lgkmcnt(0)
	v_add_u32_e32 v10, v0, v10
	v_lshlrev_b32_e32 v9, 2, v9
	ds_bpermute_b32 v13, v9, v10
	ds_read_b32 v14, v12 offset:3204
	ds_read_b128 v[9:12], v8
	ds_read_b96 v[17:19], v8 offset:16
	s_lshl_b64 s[0:1], s[6:7], 2
	s_add_u32 s0, s2, s0
	s_waitcnt lgkmcnt(3)
	v_cndmask_b32_e32 v0, v13, v0, vcc
	s_waitcnt lgkmcnt(2)
	v_lshl_add_u32 v13, v14, 16, v0
	s_waitcnt lgkmcnt(1)
	v_add_u32_e32 v14, v13, v9
	v_add_u32_e32 v15, v10, v14
	;; [unrolled: 1-line block ×4, first 2 shown]
	s_waitcnt lgkmcnt(0)
	v_add_u32_e32 v10, v17, v9
	v_add_u32_e32 v11, v18, v10
	v_add_u32_e32 v12, v19, v11
	ds_write_b128 v8, v[13:16]
	ds_write_b128 v8, v[9:12] offset:16
	s_waitcnt lgkmcnt(0)
	s_barrier
	ds_read_u16 v0, v3
	ds_read_u16 v3, v5
	;; [unrolled: 1-line block ×3, first 2 shown]
	s_addc_u32 s1, s3, s1
	s_waitcnt lgkmcnt(2)
	v_add_u32_sdwa v2, v0, v2 dst_sel:DWORD dst_unused:UNUSED_PAD src0_sel:DWORD src1_sel:WORD_0
	s_waitcnt lgkmcnt(1)
	v_add_u32_sdwa v3, v3, v4 dst_sel:DWORD dst_unused:UNUSED_PAD src0_sel:DWORD src1_sel:WORD_0
	s_waitcnt lgkmcnt(0)
	v_add_u32_sdwa v4, v5, v6 dst_sel:DWORD dst_unused:UNUSED_PAD src0_sel:DWORD src1_sel:WORD_0
	v_lshlrev_b32_e32 v0, 2, v1
	global_store_dwordx3 v0, v[2:4], s[0:1]
	s_endpgm
	.section	.rodata,"a",@progbits
	.p2align	6, 0x0
	.amdhsa_kernel _Z11rank_kernelILj100ELj3ELj4ELb0EL18RadixRankAlgorithm0EtEvPKT4_Pijj
		.amdhsa_group_segment_fixed_size 3216
		.amdhsa_private_segment_fixed_size 0
		.amdhsa_kernarg_size 24
		.amdhsa_user_sgpr_count 6
		.amdhsa_user_sgpr_private_segment_buffer 1
		.amdhsa_user_sgpr_dispatch_ptr 0
		.amdhsa_user_sgpr_queue_ptr 0
		.amdhsa_user_sgpr_kernarg_segment_ptr 1
		.amdhsa_user_sgpr_dispatch_id 0
		.amdhsa_user_sgpr_flat_scratch_init 0
		.amdhsa_user_sgpr_private_segment_size 0
		.amdhsa_uses_dynamic_stack 0
		.amdhsa_system_sgpr_private_segment_wavefront_offset 0
		.amdhsa_system_sgpr_workgroup_id_x 1
		.amdhsa_system_sgpr_workgroup_id_y 0
		.amdhsa_system_sgpr_workgroup_id_z 0
		.amdhsa_system_sgpr_workgroup_info 0
		.amdhsa_system_vgpr_workitem_id 0
		.amdhsa_next_free_vgpr 29
		.amdhsa_next_free_sgpr 61
		.amdhsa_reserve_vcc 1
		.amdhsa_reserve_flat_scratch 0
		.amdhsa_float_round_mode_32 0
		.amdhsa_float_round_mode_16_64 0
		.amdhsa_float_denorm_mode_32 3
		.amdhsa_float_denorm_mode_16_64 3
		.amdhsa_dx10_clamp 1
		.amdhsa_ieee_mode 1
		.amdhsa_fp16_overflow 0
		.amdhsa_exception_fp_ieee_invalid_op 0
		.amdhsa_exception_fp_denorm_src 0
		.amdhsa_exception_fp_ieee_div_zero 0
		.amdhsa_exception_fp_ieee_overflow 0
		.amdhsa_exception_fp_ieee_underflow 0
		.amdhsa_exception_fp_ieee_inexact 0
		.amdhsa_exception_int_div_zero 0
	.end_amdhsa_kernel
	.section	.text._Z11rank_kernelILj100ELj3ELj4ELb0EL18RadixRankAlgorithm0EtEvPKT4_Pijj,"axG",@progbits,_Z11rank_kernelILj100ELj3ELj4ELb0EL18RadixRankAlgorithm0EtEvPKT4_Pijj,comdat
.Lfunc_end8:
	.size	_Z11rank_kernelILj100ELj3ELj4ELb0EL18RadixRankAlgorithm0EtEvPKT4_Pijj, .Lfunc_end8-_Z11rank_kernelILj100ELj3ELj4ELb0EL18RadixRankAlgorithm0EtEvPKT4_Pijj
                                        ; -- End function
	.set _Z11rank_kernelILj100ELj3ELj4ELb0EL18RadixRankAlgorithm0EtEvPKT4_Pijj.num_vgpr, 20
	.set _Z11rank_kernelILj100ELj3ELj4ELb0EL18RadixRankAlgorithm0EtEvPKT4_Pijj.num_agpr, 0
	.set _Z11rank_kernelILj100ELj3ELj4ELb0EL18RadixRankAlgorithm0EtEvPKT4_Pijj.numbered_sgpr, 10
	.set _Z11rank_kernelILj100ELj3ELj4ELb0EL18RadixRankAlgorithm0EtEvPKT4_Pijj.num_named_barrier, 0
	.set _Z11rank_kernelILj100ELj3ELj4ELb0EL18RadixRankAlgorithm0EtEvPKT4_Pijj.private_seg_size, 0
	.set _Z11rank_kernelILj100ELj3ELj4ELb0EL18RadixRankAlgorithm0EtEvPKT4_Pijj.uses_vcc, 1
	.set _Z11rank_kernelILj100ELj3ELj4ELb0EL18RadixRankAlgorithm0EtEvPKT4_Pijj.uses_flat_scratch, 0
	.set _Z11rank_kernelILj100ELj3ELj4ELb0EL18RadixRankAlgorithm0EtEvPKT4_Pijj.has_dyn_sized_stack, 0
	.set _Z11rank_kernelILj100ELj3ELj4ELb0EL18RadixRankAlgorithm0EtEvPKT4_Pijj.has_recursion, 0
	.set _Z11rank_kernelILj100ELj3ELj4ELb0EL18RadixRankAlgorithm0EtEvPKT4_Pijj.has_indirect_call, 0
	.section	.AMDGPU.csdata,"",@progbits
; Kernel info:
; codeLenInByte = 1176
; TotalNumSgprs: 14
; NumVgprs: 20
; ScratchSize: 0
; MemoryBound: 0
; FloatMode: 240
; IeeeMode: 1
; LDSByteSize: 3216 bytes/workgroup (compile time only)
; SGPRBlocks: 8
; VGPRBlocks: 7
; NumSGPRsForWavesPerEU: 65
; NumVGPRsForWavesPerEU: 29
; Occupancy: 8
; WaveLimiterHint : 0
; COMPUTE_PGM_RSRC2:SCRATCH_EN: 0
; COMPUTE_PGM_RSRC2:USER_SGPR: 6
; COMPUTE_PGM_RSRC2:TRAP_HANDLER: 0
; COMPUTE_PGM_RSRC2:TGID_X_EN: 1
; COMPUTE_PGM_RSRC2:TGID_Y_EN: 0
; COMPUTE_PGM_RSRC2:TGID_Z_EN: 0
; COMPUTE_PGM_RSRC2:TIDIG_COMP_CNT: 0
	.section	.text._Z11rank_kernelILj464ELj2ELj4ELb1EL18RadixRankAlgorithm0EcEvPKT4_Pijj,"axG",@progbits,_Z11rank_kernelILj464ELj2ELj4ELb1EL18RadixRankAlgorithm0EcEvPKT4_Pijj,comdat
	.protected	_Z11rank_kernelILj464ELj2ELj4ELb1EL18RadixRankAlgorithm0EcEvPKT4_Pijj ; -- Begin function _Z11rank_kernelILj464ELj2ELj4ELb1EL18RadixRankAlgorithm0EcEvPKT4_Pijj
	.globl	_Z11rank_kernelILj464ELj2ELj4ELb1EL18RadixRankAlgorithm0EcEvPKT4_Pijj
	.p2align	8
	.type	_Z11rank_kernelILj464ELj2ELj4ELb1EL18RadixRankAlgorithm0EcEvPKT4_Pijj,@function
_Z11rank_kernelILj464ELj2ELj4ELb1EL18RadixRankAlgorithm0EcEvPKT4_Pijj: ; @_Z11rank_kernelILj464ELj2ELj4ELb1EL18RadixRankAlgorithm0EcEvPKT4_Pijj
; %bb.0:
	s_load_dwordx4 s[0:3], s[4:5], 0x0
	s_mulk_i32 s6, 0x3a0
	v_lshlrev_b32_e32 v1, 1, v0
	s_mov_b32 s7, 0
	v_mov_b32_e32 v2, 0
	s_waitcnt lgkmcnt(0)
	s_add_u32 s0, s0, s6
	s_addc_u32 s1, s1, 0
	global_load_ushort v4, v1, s[0:1]
	s_movk_i32 s0, 0x3a0
	v_lshlrev_b32_e32 v6, 2, v0
	v_cmp_gt_u32_e32 vcc, s0, v0
	ds_write_b32 v6, v2
	ds_write_b32 v6, v2 offset:1856
	ds_write_b32 v6, v2 offset:3712
	;; [unrolled: 1-line block ×5, first 2 shown]
	s_and_saveexec_b64 s[0:1], vcc
	s_cbranch_execz .LBB9_3
; %bb.1:
	s_movk_i32 s8, 0x1d0
	v_cmp_gt_u32_e32 vcc, s8, v0
	ds_write_b32 v6, v2 offset:11136
	s_and_b64 exec, exec, vcc
; %bb.2:
	v_mov_b32_e32 v2, 0
	ds_write_b32 v6, v2 offset:12992
.LBB9_3:
	s_or_b64 exec, exec, s[0:1]
	s_load_dwordx2 s[0:1], s[4:5], 0x10
	s_waitcnt vmcnt(0)
	v_xor_b32_e32 v2, 0x80, v4
	s_movk_i32 s8, 0x1d0
	v_mad_u32_u24 v6, v0, 28, v6
	s_waitcnt lgkmcnt(0)
	s_and_b32 s1, s1, 31
	s_cmp_eq_u32 s1, 0
	s_cselect_b64 s[4:5], -1, 0
	s_and_b32 s0, s0, 31
	s_add_i32 s0, s0, s1
	s_sub_i32 s0, 32, s0
	s_sub_i32 s9, 32, s1
	v_lshlrev_b32_sdwa v2, s0, v2 dst_sel:DWORD dst_unused:UNUSED_PAD src0_sel:DWORD src1_sel:BYTE_0
	v_bfe_u32 v2, v2, s9, 8
	v_xor_b32_e32 v2, 15, v2
	v_cndmask_b32_e64 v2, v2, 15, s[4:5]
	v_and_b32_e32 v3, 7, v2
	v_lshrrev_b32_e32 v2, 2, v2
	v_mad_u32_u24 v3, v3, s8, v0
	v_and_b32_e32 v2, 62, v2
	v_lshl_add_u32 v3, v3, 2, v2
	ds_read_u16 v2, v3
	s_movk_i32 s1, 0x80
	v_xor_b32_sdwa v4, v4, s1 dst_sel:DWORD dst_unused:UNUSED_PAD src0_sel:BYTE_1 src1_sel:DWORD
	v_lshlrev_b32_sdwa v4, s0, v4 dst_sel:DWORD dst_unused:UNUSED_PAD src0_sel:DWORD src1_sel:WORD_0
	v_bfe_u32 v4, v4, s9, 8
	v_xor_b32_e32 v4, 15, v4
	s_waitcnt lgkmcnt(0)
	v_add_u16_e32 v5, 1, v2
	v_cndmask_b32_e64 v4, v4, 15, s[4:5]
	ds_write_b16 v3, v5
	v_and_b32_e32 v5, 7, v4
	v_lshrrev_b32_e32 v4, 2, v4
	v_mad_u32_u24 v5, v5, s8, v0
	v_and_b32_e32 v4, 62, v4
	v_lshl_add_u32 v5, v5, 2, v4
	ds_read_u16 v4, v5
	s_waitcnt lgkmcnt(0)
	v_add_u16_e32 v7, 1, v4
	ds_write_b16 v5, v7
	s_waitcnt lgkmcnt(0)
	s_barrier
	ds_read_b128 v[7:10], v6
	ds_read_b128 v[11:14], v6 offset:16
	s_waitcnt lgkmcnt(1)
	v_add_u32_e32 v7, v8, v7
	v_add3_u32 v7, v7, v9, v10
	s_waitcnt lgkmcnt(0)
	v_add3_u32 v7, v7, v11, v12
	v_add3_u32 v8, v7, v13, v14
	v_mbcnt_lo_u32_b32 v7, -1, 0
	v_mbcnt_hi_u32_b32 v7, -1, v7
	v_and_b32_e32 v9, 15, v7
	v_mov_b32_dpp v10, v8 row_shr:1 row_mask:0xf bank_mask:0xf
	v_cmp_ne_u32_e32 vcc, 0, v9
	v_cndmask_b32_e32 v10, 0, v10, vcc
	v_add_u32_e32 v8, v10, v8
	v_cmp_lt_u32_e32 vcc, 1, v9
	s_nop 0
	v_mov_b32_dpp v10, v8 row_shr:2 row_mask:0xf bank_mask:0xf
	v_cndmask_b32_e32 v10, 0, v10, vcc
	v_add_u32_e32 v8, v8, v10
	v_cmp_lt_u32_e32 vcc, 3, v9
	s_nop 0
	v_mov_b32_dpp v10, v8 row_shr:4 row_mask:0xf bank_mask:0xf
	;; [unrolled: 5-line block ×3, first 2 shown]
	v_cndmask_b32_e32 v9, 0, v10, vcc
	v_add_u32_e32 v8, v8, v9
	v_bfe_i32 v10, v7, 4, 1
	v_cmp_lt_u32_e32 vcc, 31, v7
	v_mov_b32_dpp v9, v8 row_bcast:15 row_mask:0xf bank_mask:0xf
	v_and_b32_e32 v9, v10, v9
	v_add_u32_e32 v8, v8, v9
	v_and_b32_e32 v10, 0x1c0, v0
	v_min_u32_e32 v10, 0x190, v10
	v_mov_b32_dpp v9, v8 row_bcast:31 row_mask:0xf bank_mask:0xf
	v_cndmask_b32_e32 v9, 0, v9, vcc
	v_add_u32_e32 v8, v8, v9
	v_lshrrev_b32_e32 v9, 6, v0
	v_add_u32_e32 v10, 63, v10
	v_cmp_eq_u32_e32 vcc, v0, v10
	v_lshlrev_b32_e32 v9, 2, v9
	s_and_saveexec_b64 s[0:1], vcc
; %bb.4:
	ds_write_b32 v9, v8 offset:14848
; %bb.5:
	s_or_b64 exec, exec, s[0:1]
	v_cmp_gt_u32_e32 vcc, 8, v0
	s_waitcnt lgkmcnt(0)
	s_barrier
	s_and_saveexec_b64 s[0:1], vcc
	s_cbranch_execz .LBB9_7
; %bb.6:
	s_movk_i32 s4, 0xffe4
	v_mad_i32_i24 v10, v0, s4, v6
	ds_read_b32 v11, v10 offset:14848
	v_and_b32_e32 v12, 7, v7
	v_cmp_ne_u32_e32 vcc, 0, v12
	s_waitcnt lgkmcnt(0)
	v_mov_b32_dpp v13, v11 row_shr:1 row_mask:0xf bank_mask:0xf
	v_cndmask_b32_e32 v13, 0, v13, vcc
	v_add_u32_e32 v11, v13, v11
	v_cmp_lt_u32_e32 vcc, 1, v12
	s_nop 0
	v_mov_b32_dpp v13, v11 row_shr:2 row_mask:0xf bank_mask:0xf
	v_cndmask_b32_e32 v13, 0, v13, vcc
	v_add_u32_e32 v11, v11, v13
	v_cmp_lt_u32_e32 vcc, 3, v12
	s_nop 0
	v_mov_b32_dpp v13, v11 row_shr:4 row_mask:0xf bank_mask:0xf
	v_cndmask_b32_e32 v12, 0, v13, vcc
	v_add_u32_e32 v11, v11, v12
	ds_write_b32 v10, v11 offset:14848
.LBB9_7:
	s_or_b64 exec, exec, s[0:1]
	v_cmp_lt_u32_e32 vcc, 63, v0
	v_mov_b32_e32 v10, 0
	v_mov_b32_e32 v0, 0
	s_waitcnt lgkmcnt(0)
	s_barrier
	s_and_saveexec_b64 s[0:1], vcc
; %bb.8:
	ds_read_b32 v0, v9 offset:14844
; %bb.9:
	s_or_b64 exec, exec, s[0:1]
	v_subrev_co_u32_e32 v9, vcc, 1, v7
	v_and_b32_e32 v11, 64, v7
	v_cmp_lt_i32_e64 s[0:1], v9, v11
	v_cndmask_b32_e64 v7, v9, v7, s[0:1]
	s_waitcnt lgkmcnt(0)
	v_add_u32_e32 v8, v0, v8
	v_lshlrev_b32_e32 v7, 2, v7
	ds_bpermute_b32 v11, v7, v8
	ds_read_b32 v12, v10 offset:14876
	ds_read_b128 v[7:10], v6
	ds_read_b96 v[15:17], v6 offset:16
	s_lshl_b64 s[0:1], s[6:7], 2
	s_add_u32 s0, s2, s0
	s_waitcnt lgkmcnt(3)
	v_cndmask_b32_e32 v0, v11, v0, vcc
	s_waitcnt lgkmcnt(2)
	v_lshl_add_u32 v11, v12, 16, v0
	s_waitcnt lgkmcnt(1)
	v_add_u32_e32 v12, v11, v7
	v_add_u32_e32 v13, v8, v12
	;; [unrolled: 1-line block ×4, first 2 shown]
	s_waitcnt lgkmcnt(0)
	v_add_u32_e32 v8, v15, v7
	v_add_u32_e32 v9, v16, v8
	;; [unrolled: 1-line block ×3, first 2 shown]
	ds_write_b128 v6, v[11:14]
	ds_write_b128 v6, v[7:10] offset:16
	s_waitcnt lgkmcnt(0)
	s_barrier
	ds_read_u16 v0, v3
	ds_read_u16 v3, v5
	s_addc_u32 s1, s3, s1
	s_waitcnt lgkmcnt(1)
	v_add_u32_sdwa v2, v0, v2 dst_sel:DWORD dst_unused:UNUSED_PAD src0_sel:DWORD src1_sel:WORD_0
	s_waitcnt lgkmcnt(0)
	v_add_u32_sdwa v3, v3, v4 dst_sel:DWORD dst_unused:UNUSED_PAD src0_sel:DWORD src1_sel:WORD_0
	v_lshlrev_b32_e32 v0, 2, v1
	global_store_dwordx2 v0, v[2:3], s[0:1]
	s_endpgm
	.section	.rodata,"a",@progbits
	.p2align	6, 0x0
	.amdhsa_kernel _Z11rank_kernelILj464ELj2ELj4ELb1EL18RadixRankAlgorithm0EcEvPKT4_Pijj
		.amdhsa_group_segment_fixed_size 14880
		.amdhsa_private_segment_fixed_size 0
		.amdhsa_kernarg_size 24
		.amdhsa_user_sgpr_count 6
		.amdhsa_user_sgpr_private_segment_buffer 1
		.amdhsa_user_sgpr_dispatch_ptr 0
		.amdhsa_user_sgpr_queue_ptr 0
		.amdhsa_user_sgpr_kernarg_segment_ptr 1
		.amdhsa_user_sgpr_dispatch_id 0
		.amdhsa_user_sgpr_flat_scratch_init 0
		.amdhsa_user_sgpr_private_segment_size 0
		.amdhsa_uses_dynamic_stack 0
		.amdhsa_system_sgpr_private_segment_wavefront_offset 0
		.amdhsa_system_sgpr_workgroup_id_x 1
		.amdhsa_system_sgpr_workgroup_id_y 0
		.amdhsa_system_sgpr_workgroup_id_z 0
		.amdhsa_system_sgpr_workgroup_info 0
		.amdhsa_system_vgpr_workitem_id 0
		.amdhsa_next_free_vgpr 29
		.amdhsa_next_free_sgpr 61
		.amdhsa_reserve_vcc 1
		.amdhsa_reserve_flat_scratch 0
		.amdhsa_float_round_mode_32 0
		.amdhsa_float_round_mode_16_64 0
		.amdhsa_float_denorm_mode_32 3
		.amdhsa_float_denorm_mode_16_64 3
		.amdhsa_dx10_clamp 1
		.amdhsa_ieee_mode 1
		.amdhsa_fp16_overflow 0
		.amdhsa_exception_fp_ieee_invalid_op 0
		.amdhsa_exception_fp_denorm_src 0
		.amdhsa_exception_fp_ieee_div_zero 0
		.amdhsa_exception_fp_ieee_overflow 0
		.amdhsa_exception_fp_ieee_underflow 0
		.amdhsa_exception_fp_ieee_inexact 0
		.amdhsa_exception_int_div_zero 0
	.end_amdhsa_kernel
	.section	.text._Z11rank_kernelILj464ELj2ELj4ELb1EL18RadixRankAlgorithm0EcEvPKT4_Pijj,"axG",@progbits,_Z11rank_kernelILj464ELj2ELj4ELb1EL18RadixRankAlgorithm0EcEvPKT4_Pijj,comdat
.Lfunc_end9:
	.size	_Z11rank_kernelILj464ELj2ELj4ELb1EL18RadixRankAlgorithm0EcEvPKT4_Pijj, .Lfunc_end9-_Z11rank_kernelILj464ELj2ELj4ELb1EL18RadixRankAlgorithm0EcEvPKT4_Pijj
                                        ; -- End function
	.set _Z11rank_kernelILj464ELj2ELj4ELb1EL18RadixRankAlgorithm0EcEvPKT4_Pijj.num_vgpr, 18
	.set _Z11rank_kernelILj464ELj2ELj4ELb1EL18RadixRankAlgorithm0EcEvPKT4_Pijj.num_agpr, 0
	.set _Z11rank_kernelILj464ELj2ELj4ELb1EL18RadixRankAlgorithm0EcEvPKT4_Pijj.numbered_sgpr, 10
	.set _Z11rank_kernelILj464ELj2ELj4ELb1EL18RadixRankAlgorithm0EcEvPKT4_Pijj.num_named_barrier, 0
	.set _Z11rank_kernelILj464ELj2ELj4ELb1EL18RadixRankAlgorithm0EcEvPKT4_Pijj.private_seg_size, 0
	.set _Z11rank_kernelILj464ELj2ELj4ELb1EL18RadixRankAlgorithm0EcEvPKT4_Pijj.uses_vcc, 1
	.set _Z11rank_kernelILj464ELj2ELj4ELb1EL18RadixRankAlgorithm0EcEvPKT4_Pijj.uses_flat_scratch, 0
	.set _Z11rank_kernelILj464ELj2ELj4ELb1EL18RadixRankAlgorithm0EcEvPKT4_Pijj.has_dyn_sized_stack, 0
	.set _Z11rank_kernelILj464ELj2ELj4ELb1EL18RadixRankAlgorithm0EcEvPKT4_Pijj.has_recursion, 0
	.set _Z11rank_kernelILj464ELj2ELj4ELb1EL18RadixRankAlgorithm0EcEvPKT4_Pijj.has_indirect_call, 0
	.section	.AMDGPU.csdata,"",@progbits
; Kernel info:
; codeLenInByte = 1028
; TotalNumSgprs: 14
; NumVgprs: 18
; ScratchSize: 0
; MemoryBound: 0
; FloatMode: 240
; IeeeMode: 1
; LDSByteSize: 14880 bytes/workgroup (compile time only)
; SGPRBlocks: 8
; VGPRBlocks: 7
; NumSGPRsForWavesPerEU: 65
; NumVGPRsForWavesPerEU: 29
; Occupancy: 8
; WaveLimiterHint : 0
; COMPUTE_PGM_RSRC2:SCRATCH_EN: 0
; COMPUTE_PGM_RSRC2:USER_SGPR: 6
; COMPUTE_PGM_RSRC2:TRAP_HANDLER: 0
; COMPUTE_PGM_RSRC2:TGID_X_EN: 1
; COMPUTE_PGM_RSRC2:TGID_Y_EN: 0
; COMPUTE_PGM_RSRC2:TGID_Z_EN: 0
; COMPUTE_PGM_RSRC2:TIDIG_COMP_CNT: 0
	.section	.text._Z11rank_kernelILj33ELj5ELj4ELb0EL18RadixRankAlgorithm0EdEvPKT4_Pijj,"axG",@progbits,_Z11rank_kernelILj33ELj5ELj4ELb0EL18RadixRankAlgorithm0EdEvPKT4_Pijj,comdat
	.protected	_Z11rank_kernelILj33ELj5ELj4ELb0EL18RadixRankAlgorithm0EdEvPKT4_Pijj ; -- Begin function _Z11rank_kernelILj33ELj5ELj4ELb0EL18RadixRankAlgorithm0EdEvPKT4_Pijj
	.globl	_Z11rank_kernelILj33ELj5ELj4ELb0EL18RadixRankAlgorithm0EdEvPKT4_Pijj
	.p2align	8
	.type	_Z11rank_kernelILj33ELj5ELj4ELb0EL18RadixRankAlgorithm0EdEvPKT4_Pijj,@function
_Z11rank_kernelILj33ELj5ELj4ELb0EL18RadixRankAlgorithm0EdEvPKT4_Pijj: ; @_Z11rank_kernelILj33ELj5ELj4ELb0EL18RadixRankAlgorithm0EdEvPKT4_Pijj
; %bb.0:
	s_load_dwordx4 s[0:3], s[4:5], 0x0
	s_mulk_i32 s6, 0xa5
	s_mov_b32 s7, 0
	s_lshl_b64 s[8:9], s[6:7], 3
	v_mul_u32_u24_e32 v11, 5, v0
	s_waitcnt lgkmcnt(0)
	s_add_u32 s0, s0, s8
	s_addc_u32 s1, s1, s9
	v_lshlrev_b32_e32 v12, 3, v11
	global_load_dwordx2 v[9:10], v12, s[0:1] offset:32
	global_load_dwordx4 v[1:4], v12, s[0:1] offset:16
	global_load_dwordx4 v[5:8], v12, s[0:1]
	s_movk_i32 s0, 0x108
	v_mov_b32_e32 v13, 0
	v_cmp_gt_u32_e32 vcc, s0, v0
	s_and_saveexec_b64 s[0:1], vcc
	s_cbranch_execz .LBB10_9
; %bb.1:
	s_movk_i32 s8, 0xe7
	v_lshlrev_b32_e32 v12, 2, v0
	v_cmp_gt_u32_e32 vcc, s8, v0
	ds_write_b32 v12, v13
	s_and_b64 exec, exec, vcc
	s_cbranch_execz .LBB10_9
; %bb.2:
	s_movk_i32 s8, 0xc6
	v_mov_b32_e32 v13, 0
	v_cmp_gt_u32_e32 vcc, s8, v0
	ds_write_b32 v12, v13 offset:132
	s_and_b64 exec, exec, vcc
	s_cbranch_execz .LBB10_9
; %bb.3:
	s_movk_i32 s8, 0xa5
	v_cmp_gt_u32_e32 vcc, s8, v0
	ds_write_b32 v12, v13 offset:264
	s_and_b64 exec, exec, vcc
	s_cbranch_execz .LBB10_9
; %bb.4:
	s_movk_i32 s8, 0x84
	v_mov_b32_e32 v13, 0
	v_cmp_gt_u32_e32 vcc, s8, v0
	ds_write_b32 v12, v13 offset:396
	s_and_b64 exec, exec, vcc
	s_cbranch_execz .LBB10_9
; %bb.5:
	s_movk_i32 s8, 0x63
	v_cmp_gt_u32_e32 vcc, s8, v0
	ds_write_b32 v12, v13 offset:528
	s_and_b64 exec, exec, vcc
	s_cbranch_execz .LBB10_9
; %bb.6:
	s_movk_i32 s8, 0x42
	v_mov_b32_e32 v13, 0
	v_cmp_gt_u32_e32 vcc, s8, v0
	ds_write_b32 v12, v13 offset:660
	s_and_b64 exec, exec, vcc
	s_cbranch_execz .LBB10_9
; %bb.7:
	v_cmp_gt_u32_e32 vcc, 33, v0
	ds_write_b32 v12, v13 offset:792
	s_and_b64 exec, exec, vcc
; %bb.8:
	v_mov_b32_e32 v13, 0
	ds_write_b32 v12, v13 offset:924
.LBB10_9:
	s_or_b64 exec, exec, s[0:1]
	s_load_dwordx2 s[4:5], s[4:5], 0x10
	s_waitcnt lgkmcnt(0)
	s_and_b32 s5, s5, 63
	s_cmp_lg_u32 s5, 0
	s_cselect_b64 s[8:9], -1, 0
	s_sub_u32 s10, 64, s5
	s_and_b64 vcc, exec, s[8:9]
	s_cbranch_vccz .LBB10_11
; %bb.10:
	s_waitcnt vmcnt(0)
	v_cmp_lt_i64_e32 vcc, -1, v[5:6]
	v_bfrev_b32_e32 v12, 1
	s_mov_b32 s0, -1
	v_cndmask_b32_e32 v13, -1, v12, vcc
	v_ashrrev_i32_e32 v14, 31, v6
	s_brev_b32 s1, -2
	v_xor_b32_e32 v6, v13, v6
	v_xor_b32_e32 v5, v14, v5
	v_cmp_ne_u64_e32 vcc, s[0:1], v[5:6]
	s_and_b32 s0, s4, 63
	s_add_i32 s0, s0, s5
	v_cndmask_b32_e32 v6, v12, v6, vcc
	v_cndmask_b32_e32 v5, 0, v5, vcc
	s_sub_i32 s0, 64, s0
	v_lshlrev_b64 v[5:6], s0, v[5:6]
	v_lshrrev_b64 v[5:6], s10, v[5:6]
	s_branch .LBB10_12
.LBB10_11:
	s_waitcnt vmcnt(0)
	v_mov_b32_e32 v5, 0
.LBB10_12:
	v_and_b32_e32 v6, 7, v5
	v_lshrrev_b32_e32 v5, 2, v5
	v_mad_u32_u24 v6, v6, 33, v0
	v_and_b32_e32 v5, 0x3ffffffe, v5
	v_lshl_add_u32 v13, v6, 2, v5
	ds_read_u16 v12, v13
	v_cndmask_b32_e64 v6, 0, 1, s[8:9]
	v_mov_b32_e32 v5, 0
	v_cmp_ne_u32_e64 s[0:1], 1, v6
	s_andn2_b64 vcc, exec, s[8:9]
	s_waitcnt lgkmcnt(0)
	v_add_u16_e32 v14, 1, v12
	v_mov_b32_e32 v6, 0
	ds_write_b16 v13, v14
	s_cbranch_vccnz .LBB10_14
; %bb.13:
	v_cmp_lt_i64_e32 vcc, -1, v[7:8]
	v_bfrev_b32_e32 v6, 1
	s_mov_b32 s8, -1
	v_cndmask_b32_e32 v14, -1, v6, vcc
	v_ashrrev_i32_e32 v15, 31, v8
	s_brev_b32 s9, -2
	v_xor_b32_e32 v8, v14, v8
	v_xor_b32_e32 v7, v15, v7
	v_cmp_ne_u64_e32 vcc, s[8:9], v[7:8]
	s_and_b32 s8, s4, 63
	s_add_i32 s8, s8, s5
	v_cndmask_b32_e32 v8, v6, v8, vcc
	v_cndmask_b32_e32 v7, 0, v7, vcc
	s_sub_i32 s8, 64, s8
	v_lshlrev_b64 v[6:7], s8, v[7:8]
	v_lshrrev_b64 v[6:7], s10, v[6:7]
.LBB10_14:
	v_and_b32_e32 v7, 7, v6
	v_lshrrev_b32_e32 v6, 2, v6
	v_mad_u32_u24 v7, v7, 33, v0
	v_and_b32_e32 v6, 0x3ffffffe, v6
	v_lshl_add_u32 v8, v7, 2, v6
	ds_read_u16 v7, v8
	s_and_b64 vcc, exec, s[0:1]
	s_waitcnt lgkmcnt(0)
	v_add_u16_e32 v6, 1, v7
	ds_write_b16 v8, v6
	s_cbranch_vccnz .LBB10_16
; %bb.15:
	v_cmp_lt_i64_e32 vcc, -1, v[1:2]
	v_bfrev_b32_e32 v5, 1
	s_mov_b32 s8, -1
	v_cndmask_b32_e32 v6, -1, v5, vcc
	v_ashrrev_i32_e32 v14, 31, v2
	s_brev_b32 s9, -2
	v_xor_b32_e32 v2, v6, v2
	v_xor_b32_e32 v1, v14, v1
	v_cmp_ne_u64_e32 vcc, s[8:9], v[1:2]
	s_and_b32 s8, s4, 63
	s_add_i32 s8, s8, s5
	v_cndmask_b32_e32 v2, v5, v2, vcc
	v_cndmask_b32_e32 v1, 0, v1, vcc
	s_sub_i32 s8, 64, s8
	v_lshlrev_b64 v[1:2], s8, v[1:2]
	v_lshrrev_b64 v[5:6], s10, v[1:2]
.LBB10_16:
	v_and_b32_e32 v1, 7, v5
	v_lshrrev_b32_e32 v2, 2, v5
	v_mad_u32_u24 v1, v1, 33, v0
	v_and_b32_e32 v2, 0x3ffffffe, v2
	v_lshl_add_u32 v6, v1, 2, v2
	ds_read_u16 v5, v6
	v_mov_b32_e32 v1, 0
	s_and_b64 vcc, exec, s[0:1]
	s_waitcnt lgkmcnt(0)
	v_add_u16_e32 v2, 1, v5
	ds_write_b16 v6, v2
	v_mov_b32_e32 v2, 0
	s_cbranch_vccnz .LBB10_18
; %bb.17:
	v_cmp_lt_i64_e32 vcc, -1, v[3:4]
	v_bfrev_b32_e32 v2, 1
	s_mov_b32 s8, -1
	v_cndmask_b32_e32 v14, -1, v2, vcc
	v_ashrrev_i32_e32 v15, 31, v4
	s_brev_b32 s9, -2
	v_xor_b32_e32 v4, v14, v4
	v_xor_b32_e32 v3, v15, v3
	v_cmp_ne_u64_e32 vcc, s[8:9], v[3:4]
	s_and_b32 s8, s4, 63
	s_add_i32 s8, s8, s5
	v_cndmask_b32_e32 v4, v2, v4, vcc
	v_cndmask_b32_e32 v3, 0, v3, vcc
	s_sub_i32 s8, 64, s8
	v_lshlrev_b64 v[2:3], s8, v[3:4]
	v_lshrrev_b64 v[2:3], s10, v[2:3]
.LBB10_18:
	v_and_b32_e32 v3, 7, v2
	v_lshrrev_b32_e32 v2, 2, v2
	v_mad_u32_u24 v3, v3, 33, v0
	v_and_b32_e32 v2, 0x3ffffffe, v2
	v_lshl_add_u32 v4, v3, 2, v2
	ds_read_u16 v3, v4
	s_and_b64 vcc, exec, s[0:1]
	s_waitcnt lgkmcnt(0)
	v_add_u16_e32 v2, 1, v3
	ds_write_b16 v4, v2
	s_cbranch_vccnz .LBB10_20
; %bb.19:
	v_cmp_lt_i64_e32 vcc, -1, v[9:10]
	v_bfrev_b32_e32 v14, 1
	s_mov_b32 s0, -1
	v_cndmask_b32_e32 v1, -1, v14, vcc
	v_ashrrev_i32_e32 v15, 31, v10
	s_brev_b32 s1, -2
	v_xor_b32_e32 v2, v1, v10
	v_xor_b32_e32 v1, v15, v9
	v_cmp_ne_u64_e32 vcc, s[0:1], v[1:2]
	s_and_b32 s0, s4, 63
	s_add_i32 s0, s0, s5
	v_cndmask_b32_e32 v2, v14, v2, vcc
	v_cndmask_b32_e32 v1, 0, v1, vcc
	s_sub_i32 s0, 64, s0
	v_lshlrev_b64 v[1:2], s0, v[1:2]
	v_lshrrev_b64 v[1:2], s10, v[1:2]
.LBB10_20:
	v_and_b32_e32 v2, 7, v1
	v_lshrrev_b32_e32 v1, 2, v1
	v_mad_u32_u24 v2, v2, 33, v0
	v_and_b32_e32 v1, 0x3ffffffe, v1
	v_lshl_add_u32 v2, v2, 2, v1
	ds_read_u16 v1, v2
	v_mbcnt_lo_u32_b32 v10, -1, 0
	v_mbcnt_hi_u32_b32 v10, -1, v10
	s_waitcnt lgkmcnt(0)
	v_add_u16_e32 v9, 1, v1
	ds_write_b16 v2, v9
	v_lshlrev_b32_e32 v9, 5, v0
	s_waitcnt lgkmcnt(0)
	; wave barrier
	ds_read_b128 v[14:17], v9
	ds_read_b128 v[18:21], v9 offset:16
	s_waitcnt lgkmcnt(1)
	v_add_u32_e32 v14, v15, v14
	v_add3_u32 v14, v14, v16, v17
	s_waitcnt lgkmcnt(0)
	v_add3_u32 v14, v14, v18, v19
	v_add3_u32 v14, v14, v20, v21
	v_and_b32_e32 v15, 15, v10
	v_cmp_ne_u32_e32 vcc, 0, v15
	v_mov_b32_dpp v16, v14 row_shr:1 row_mask:0xf bank_mask:0xf
	v_cndmask_b32_e32 v16, 0, v16, vcc
	v_add_u32_e32 v14, v16, v14
	v_cmp_lt_u32_e32 vcc, 1, v15
	s_nop 0
	v_mov_b32_dpp v16, v14 row_shr:2 row_mask:0xf bank_mask:0xf
	v_cndmask_b32_e32 v16, 0, v16, vcc
	v_add_u32_e32 v14, v14, v16
	v_cmp_lt_u32_e32 vcc, 3, v15
	s_nop 0
	;; [unrolled: 5-line block ×3, first 2 shown]
	v_mov_b32_dpp v16, v14 row_shr:8 row_mask:0xf bank_mask:0xf
	v_cndmask_b32_e32 v15, 0, v16, vcc
	v_add_u32_e32 v14, v14, v15
	v_bfe_i32 v16, v10, 4, 1
	v_cmp_lt_u32_e32 vcc, 31, v10
	v_mov_b32_dpp v15, v14 row_bcast:15 row_mask:0xf bank_mask:0xf
	v_and_b32_e32 v15, v16, v15
	v_add_u32_e32 v14, v14, v15
	s_nop 1
	v_mov_b32_dpp v15, v14 row_bcast:31 row_mask:0xf bank_mask:0xf
	v_cndmask_b32_e32 v15, 0, v15, vcc
	v_add_u32_e32 v14, v14, v15
	v_cmp_eq_u32_e32 vcc, 32, v0
	s_and_saveexec_b64 s[0:1], vcc
; %bb.21:
	v_mov_b32_e32 v0, 0
	ds_write_b32 v0, v14 offset:1056
; %bb.22:
	s_or_b64 exec, exec, s[0:1]
	v_subrev_co_u32_e32 v0, vcc, 1, v10
	v_and_b32_e32 v15, 64, v10
	v_cmp_lt_i32_e64 s[0:1], v0, v15
	v_cndmask_b32_e64 v0, v0, v10, s[0:1]
	v_lshlrev_b32_e32 v0, 2, v0
	ds_bpermute_b32 v0, v0, v14
	v_mov_b32_e32 v10, 0
	s_waitcnt lgkmcnt(0)
	; wave barrier
	ds_read_b32 v10, v10 offset:1056
	ds_read_b128 v[14:17], v9
	v_cndmask_b32_e64 v0, v0, 0, vcc
	ds_read_b96 v[22:24], v9 offset:16
	s_lshl_b64 s[0:1], s[6:7], 2
	s_waitcnt lgkmcnt(2)
	v_lshl_add_u32 v18, v10, 16, v0
	s_waitcnt lgkmcnt(1)
	v_add_u32_e32 v19, v18, v14
	v_add_u32_e32 v20, v15, v19
	;; [unrolled: 1-line block ×4, first 2 shown]
	s_waitcnt lgkmcnt(0)
	v_add_u32_e32 v15, v22, v14
	v_add_u32_e32 v16, v23, v15
	;; [unrolled: 1-line block ×3, first 2 shown]
	ds_write_b128 v9, v[18:21]
	ds_write_b128 v9, v[14:17] offset:16
	s_waitcnt lgkmcnt(0)
	; wave barrier
	ds_read_u16 v0, v13
	ds_read_u16 v8, v8
	ds_read_u16 v9, v6
	ds_read_u16 v4, v4
	ds_read_u16 v2, v2
	s_add_u32 s0, s2, s0
	s_waitcnt lgkmcnt(4)
	v_add_u32_sdwa v6, v0, v12 dst_sel:DWORD dst_unused:UNUSED_PAD src0_sel:DWORD src1_sel:WORD_0
	s_waitcnt lgkmcnt(3)
	v_add_u32_sdwa v7, v8, v7 dst_sel:DWORD dst_unused:UNUSED_PAD src0_sel:DWORD src1_sel:WORD_0
	;; [unrolled: 2-line block ×5, first 2 shown]
	s_addc_u32 s1, s3, s1
	v_lshlrev_b32_e32 v1, 2, v11
	global_store_dwordx4 v1, v[6:9], s[0:1]
	global_store_dword v1, v0, s[0:1] offset:16
	s_endpgm
	.section	.rodata,"a",@progbits
	.p2align	6, 0x0
	.amdhsa_kernel _Z11rank_kernelILj33ELj5ELj4ELb0EL18RadixRankAlgorithm0EdEvPKT4_Pijj
		.amdhsa_group_segment_fixed_size 1328
		.amdhsa_private_segment_fixed_size 0
		.amdhsa_kernarg_size 24
		.amdhsa_user_sgpr_count 6
		.amdhsa_user_sgpr_private_segment_buffer 1
		.amdhsa_user_sgpr_dispatch_ptr 0
		.amdhsa_user_sgpr_queue_ptr 0
		.amdhsa_user_sgpr_kernarg_segment_ptr 1
		.amdhsa_user_sgpr_dispatch_id 0
		.amdhsa_user_sgpr_flat_scratch_init 0
		.amdhsa_user_sgpr_private_segment_size 0
		.amdhsa_uses_dynamic_stack 0
		.amdhsa_system_sgpr_private_segment_wavefront_offset 0
		.amdhsa_system_sgpr_workgroup_id_x 1
		.amdhsa_system_sgpr_workgroup_id_y 0
		.amdhsa_system_sgpr_workgroup_id_z 0
		.amdhsa_system_sgpr_workgroup_info 0
		.amdhsa_system_vgpr_workitem_id 0
		.amdhsa_next_free_vgpr 25
		.amdhsa_next_free_sgpr 11
		.amdhsa_reserve_vcc 1
		.amdhsa_reserve_flat_scratch 0
		.amdhsa_float_round_mode_32 0
		.amdhsa_float_round_mode_16_64 0
		.amdhsa_float_denorm_mode_32 3
		.amdhsa_float_denorm_mode_16_64 3
		.amdhsa_dx10_clamp 1
		.amdhsa_ieee_mode 1
		.amdhsa_fp16_overflow 0
		.amdhsa_exception_fp_ieee_invalid_op 0
		.amdhsa_exception_fp_denorm_src 0
		.amdhsa_exception_fp_ieee_div_zero 0
		.amdhsa_exception_fp_ieee_overflow 0
		.amdhsa_exception_fp_ieee_underflow 0
		.amdhsa_exception_fp_ieee_inexact 0
		.amdhsa_exception_int_div_zero 0
	.end_amdhsa_kernel
	.section	.text._Z11rank_kernelILj33ELj5ELj4ELb0EL18RadixRankAlgorithm0EdEvPKT4_Pijj,"axG",@progbits,_Z11rank_kernelILj33ELj5ELj4ELb0EL18RadixRankAlgorithm0EdEvPKT4_Pijj,comdat
.Lfunc_end10:
	.size	_Z11rank_kernelILj33ELj5ELj4ELb0EL18RadixRankAlgorithm0EdEvPKT4_Pijj, .Lfunc_end10-_Z11rank_kernelILj33ELj5ELj4ELb0EL18RadixRankAlgorithm0EdEvPKT4_Pijj
                                        ; -- End function
	.set _Z11rank_kernelILj33ELj5ELj4ELb0EL18RadixRankAlgorithm0EdEvPKT4_Pijj.num_vgpr, 25
	.set _Z11rank_kernelILj33ELj5ELj4ELb0EL18RadixRankAlgorithm0EdEvPKT4_Pijj.num_agpr, 0
	.set _Z11rank_kernelILj33ELj5ELj4ELb0EL18RadixRankAlgorithm0EdEvPKT4_Pijj.numbered_sgpr, 11
	.set _Z11rank_kernelILj33ELj5ELj4ELb0EL18RadixRankAlgorithm0EdEvPKT4_Pijj.num_named_barrier, 0
	.set _Z11rank_kernelILj33ELj5ELj4ELb0EL18RadixRankAlgorithm0EdEvPKT4_Pijj.private_seg_size, 0
	.set _Z11rank_kernelILj33ELj5ELj4ELb0EL18RadixRankAlgorithm0EdEvPKT4_Pijj.uses_vcc, 1
	.set _Z11rank_kernelILj33ELj5ELj4ELb0EL18RadixRankAlgorithm0EdEvPKT4_Pijj.uses_flat_scratch, 0
	.set _Z11rank_kernelILj33ELj5ELj4ELb0EL18RadixRankAlgorithm0EdEvPKT4_Pijj.has_dyn_sized_stack, 0
	.set _Z11rank_kernelILj33ELj5ELj4ELb0EL18RadixRankAlgorithm0EdEvPKT4_Pijj.has_recursion, 0
	.set _Z11rank_kernelILj33ELj5ELj4ELb0EL18RadixRankAlgorithm0EdEvPKT4_Pijj.has_indirect_call, 0
	.section	.AMDGPU.csdata,"",@progbits
; Kernel info:
; codeLenInByte = 1556
; TotalNumSgprs: 15
; NumVgprs: 25
; ScratchSize: 0
; MemoryBound: 0
; FloatMode: 240
; IeeeMode: 1
; LDSByteSize: 1328 bytes/workgroup (compile time only)
; SGPRBlocks: 1
; VGPRBlocks: 6
; NumSGPRsForWavesPerEU: 15
; NumVGPRsForWavesPerEU: 25
; Occupancy: 9
; WaveLimiterHint : 0
; COMPUTE_PGM_RSRC2:SCRATCH_EN: 0
; COMPUTE_PGM_RSRC2:USER_SGPR: 6
; COMPUTE_PGM_RSRC2:TRAP_HANDLER: 0
; COMPUTE_PGM_RSRC2:TGID_X_EN: 1
; COMPUTE_PGM_RSRC2:TGID_Y_EN: 0
; COMPUTE_PGM_RSRC2:TGID_Z_EN: 0
; COMPUTE_PGM_RSRC2:TIDIG_COMP_CNT: 0
	.section	.text._Z11rank_kernelILj512ELj2ELj4ELb0EL18RadixRankAlgorithm0EfEvPKT4_Pijj,"axG",@progbits,_Z11rank_kernelILj512ELj2ELj4ELb0EL18RadixRankAlgorithm0EfEvPKT4_Pijj,comdat
	.protected	_Z11rank_kernelILj512ELj2ELj4ELb0EL18RadixRankAlgorithm0EfEvPKT4_Pijj ; -- Begin function _Z11rank_kernelILj512ELj2ELj4ELb0EL18RadixRankAlgorithm0EfEvPKT4_Pijj
	.globl	_Z11rank_kernelILj512ELj2ELj4ELb0EL18RadixRankAlgorithm0EfEvPKT4_Pijj
	.p2align	8
	.type	_Z11rank_kernelILj512ELj2ELj4ELb0EL18RadixRankAlgorithm0EfEvPKT4_Pijj,@function
_Z11rank_kernelILj512ELj2ELj4ELb0EL18RadixRankAlgorithm0EfEvPKT4_Pijj: ; @_Z11rank_kernelILj512ELj2ELj4ELb0EL18RadixRankAlgorithm0EfEvPKT4_Pijj
; %bb.0:
	s_load_dwordx4 s[0:3], s[4:5], 0x0
	s_lshl_b32 s6, s6, 10
	s_mov_b32 s7, 0
	s_lshl_b64 s[6:7], s[6:7], 2
	v_lshlrev_b32_e32 v1, 3, v0
	s_waitcnt lgkmcnt(0)
	s_add_u32 s0, s0, s6
	s_addc_u32 s1, s1, s7
	global_load_dwordx2 v[1:2], v1, s[0:1]
	v_or_b32_e32 v4, 0xc00, v0
	s_movk_i32 s8, 0xe00
	v_mov_b32_e32 v3, 0
	v_lshlrev_b32_e32 v5, 2, v0
	v_cmp_gt_u32_e32 vcc, s8, v4
	ds_write2st64_b32 v5, v3, v3 offset1:8
	ds_write2st64_b32 v5, v3, v3 offset0:16 offset1:24
	ds_write2st64_b32 v5, v3, v3 offset0:32 offset1:40
	ds_write_b32 v5, v3 offset:12288
	s_and_saveexec_b64 s[0:1], vcc
; %bb.1:
	ds_write_b32 v5, v3 offset:14336
; %bb.2:
	s_or_b64 exec, exec, s[0:1]
	s_load_dwordx2 s[0:1], s[4:5], 0x10
	v_bfrev_b32_e32 v4, 1
	s_waitcnt vmcnt(0)
	v_cmp_lt_i32_e32 vcc, -1, v1
	v_cndmask_b32_e32 v3, -1, v4, vcc
	v_xor_b32_e32 v1, v3, v1
	s_waitcnt lgkmcnt(0)
	s_and_b32 s1, s1, 31
	s_cmp_eq_u32 s1, 0
	s_cselect_b64 s[4:5], -1, 0
	s_and_b32 s0, s0, 31
	s_brev_b32 s9, -2
	s_add_i32 s0, s0, s1
	v_cmp_ne_u32_e32 vcc, s9, v1
	s_sub_i32 s0, 32, s0
	v_cndmask_b32_e32 v1, v4, v1, vcc
	s_sub_i32 s1, 32, s1
	v_lshlrev_b32_e32 v1, s0, v1
	v_lshrrev_b32_e32 v1, s1, v1
	v_cndmask_b32_e64 v1, v1, 0, s[4:5]
	v_cmp_lt_i32_e32 vcc, -1, v2
	v_lshlrev_b32_e32 v3, 9, v1
	v_lshrrev_b32_e32 v1, 2, v1
	v_cndmask_b32_e32 v6, -1, v4, vcc
	v_and_or_b32 v3, v3, s8, v0
	v_and_b32_e32 v1, 0x3ffffffe, v1
	v_xor_b32_e32 v2, v6, v2
	v_lshl_add_u32 v3, v3, 2, v1
	v_cmp_ne_u32_e32 vcc, s9, v2
	ds_read_u16 v1, v3
	v_cndmask_b32_e32 v2, v4, v2, vcc
	v_lshlrev_b32_e32 v2, s0, v2
	v_lshrrev_b32_e32 v2, s1, v2
	v_cndmask_b32_e64 v2, v2, 0, s[4:5]
	v_lshlrev_b32_e32 v4, 9, v2
	v_lshrrev_b32_e32 v2, 2, v2
	s_waitcnt lgkmcnt(0)
	v_add_u16_e32 v6, 1, v1
	v_and_or_b32 v4, v4, s8, v0
	v_and_b32_e32 v2, 0x3ffffffe, v2
	ds_write_b16 v3, v6
	v_lshl_add_u32 v4, v4, 2, v2
	ds_read_u16 v2, v4
	v_mad_u32_u24 v5, v0, 28, v5
	s_waitcnt lgkmcnt(0)
	v_add_u16_e32 v6, 1, v2
	ds_write_b16 v4, v6
	s_waitcnt lgkmcnt(0)
	s_barrier
	ds_read_b128 v[6:9], v5
	ds_read_b128 v[10:13], v5 offset:16
	s_waitcnt lgkmcnt(1)
	v_add_u32_e32 v6, v7, v6
	v_add3_u32 v6, v6, v8, v9
	s_waitcnt lgkmcnt(0)
	v_add3_u32 v6, v6, v10, v11
	v_add3_u32 v7, v6, v12, v13
	v_mbcnt_lo_u32_b32 v6, -1, 0
	v_mbcnt_hi_u32_b32 v6, -1, v6
	v_and_b32_e32 v8, 15, v6
	v_mov_b32_dpp v9, v7 row_shr:1 row_mask:0xf bank_mask:0xf
	v_cmp_ne_u32_e32 vcc, 0, v8
	v_cndmask_b32_e32 v9, 0, v9, vcc
	v_add_u32_e32 v7, v9, v7
	v_cmp_lt_u32_e32 vcc, 1, v8
	s_nop 0
	v_mov_b32_dpp v9, v7 row_shr:2 row_mask:0xf bank_mask:0xf
	v_cndmask_b32_e32 v9, 0, v9, vcc
	v_add_u32_e32 v7, v7, v9
	v_cmp_lt_u32_e32 vcc, 3, v8
	s_nop 0
	v_mov_b32_dpp v9, v7 row_shr:4 row_mask:0xf bank_mask:0xf
	;; [unrolled: 5-line block ×3, first 2 shown]
	v_cndmask_b32_e32 v8, 0, v9, vcc
	v_add_u32_e32 v7, v7, v8
	v_bfe_i32 v9, v6, 4, 1
	v_cmp_lt_u32_e32 vcc, 31, v6
	v_mov_b32_dpp v8, v7 row_bcast:15 row_mask:0xf bank_mask:0xf
	v_and_b32_e32 v8, v9, v8
	v_add_u32_e32 v7, v7, v8
	v_or_b32_e32 v9, 63, v0
	s_nop 0
	v_mov_b32_dpp v8, v7 row_bcast:31 row_mask:0xf bank_mask:0xf
	v_cndmask_b32_e32 v8, 0, v8, vcc
	v_add_u32_e32 v8, v7, v8
	v_lshrrev_b32_e32 v7, 6, v0
	v_cmp_eq_u32_e32 vcc, v0, v9
	v_lshlrev_b32_e32 v9, 2, v7
	s_and_saveexec_b64 s[0:1], vcc
; %bb.3:
	ds_write_b32 v9, v8 offset:16384
; %bb.4:
	s_or_b64 exec, exec, s[0:1]
	v_lshlrev_b32_e32 v7, 1, v0
	v_cmp_gt_u32_e32 vcc, 8, v0
	s_waitcnt lgkmcnt(0)
	s_barrier
	s_and_saveexec_b64 s[0:1], vcc
	s_cbranch_execz .LBB11_6
; %bb.5:
	s_movk_i32 s4, 0xffe4
	v_mad_i32_i24 v10, v0, s4, v5
	ds_read_b32 v11, v10 offset:16384
	v_and_b32_e32 v12, 7, v6
	v_cmp_ne_u32_e32 vcc, 0, v12
	s_waitcnt lgkmcnt(0)
	v_mov_b32_dpp v13, v11 row_shr:1 row_mask:0xf bank_mask:0xf
	v_cndmask_b32_e32 v13, 0, v13, vcc
	v_add_u32_e32 v11, v13, v11
	v_cmp_lt_u32_e32 vcc, 1, v12
	s_nop 0
	v_mov_b32_dpp v13, v11 row_shr:2 row_mask:0xf bank_mask:0xf
	v_cndmask_b32_e32 v13, 0, v13, vcc
	v_add_u32_e32 v11, v11, v13
	v_cmp_lt_u32_e32 vcc, 3, v12
	s_nop 0
	v_mov_b32_dpp v13, v11 row_shr:4 row_mask:0xf bank_mask:0xf
	v_cndmask_b32_e32 v12, 0, v13, vcc
	v_add_u32_e32 v11, v11, v12
	ds_write_b32 v10, v11 offset:16384
.LBB11_6:
	s_or_b64 exec, exec, s[0:1]
	v_cmp_lt_u32_e32 vcc, 63, v0
	v_mov_b32_e32 v10, 0
	v_mov_b32_e32 v0, 0
	s_waitcnt lgkmcnt(0)
	s_barrier
	s_and_saveexec_b64 s[0:1], vcc
; %bb.7:
	ds_read_b32 v0, v9 offset:16380
; %bb.8:
	s_or_b64 exec, exec, s[0:1]
	v_subrev_co_u32_e32 v9, vcc, 1, v6
	v_and_b32_e32 v11, 64, v6
	v_cmp_lt_i32_e64 s[0:1], v9, v11
	v_cndmask_b32_e64 v6, v9, v6, s[0:1]
	s_waitcnt lgkmcnt(0)
	v_add_u32_e32 v8, v0, v8
	v_lshlrev_b32_e32 v6, 2, v6
	ds_bpermute_b32 v6, v6, v8
	ds_read_b32 v12, v10 offset:16412
	ds_read_b128 v[8:11], v5
	ds_read_b96 v[16:18], v5 offset:16
	s_add_u32 s0, s2, s6
	s_addc_u32 s1, s3, s7
	s_waitcnt lgkmcnt(3)
	v_cndmask_b32_e32 v0, v6, v0, vcc
	s_waitcnt lgkmcnt(2)
	v_lshl_add_u32 v12, v12, 16, v0
	s_waitcnt lgkmcnt(1)
	v_add_u32_e32 v13, v12, v8
	v_add_u32_e32 v14, v9, v13
	;; [unrolled: 1-line block ×4, first 2 shown]
	s_waitcnt lgkmcnt(0)
	v_add_u32_e32 v9, v16, v8
	v_add_u32_e32 v10, v17, v9
	;; [unrolled: 1-line block ×3, first 2 shown]
	ds_write_b128 v5, v[12:15]
	ds_write_b128 v5, v[8:11] offset:16
	s_waitcnt lgkmcnt(0)
	s_barrier
	ds_read_u16 v0, v3
	ds_read_u16 v3, v4
	s_waitcnt lgkmcnt(1)
	v_add_u32_sdwa v0, v0, v1 dst_sel:DWORD dst_unused:UNUSED_PAD src0_sel:DWORD src1_sel:WORD_0
	s_waitcnt lgkmcnt(0)
	v_add_u32_sdwa v1, v3, v2 dst_sel:DWORD dst_unused:UNUSED_PAD src0_sel:DWORD src1_sel:WORD_0
	v_lshlrev_b32_e32 v2, 2, v7
	global_store_dwordx2 v2, v[0:1], s[0:1]
	s_endpgm
	.section	.rodata,"a",@progbits
	.p2align	6, 0x0
	.amdhsa_kernel _Z11rank_kernelILj512ELj2ELj4ELb0EL18RadixRankAlgorithm0EfEvPKT4_Pijj
		.amdhsa_group_segment_fixed_size 16416
		.amdhsa_private_segment_fixed_size 0
		.amdhsa_kernarg_size 24
		.amdhsa_user_sgpr_count 6
		.amdhsa_user_sgpr_private_segment_buffer 1
		.amdhsa_user_sgpr_dispatch_ptr 0
		.amdhsa_user_sgpr_queue_ptr 0
		.amdhsa_user_sgpr_kernarg_segment_ptr 1
		.amdhsa_user_sgpr_dispatch_id 0
		.amdhsa_user_sgpr_flat_scratch_init 0
		.amdhsa_user_sgpr_private_segment_size 0
		.amdhsa_uses_dynamic_stack 0
		.amdhsa_system_sgpr_private_segment_wavefront_offset 0
		.amdhsa_system_sgpr_workgroup_id_x 1
		.amdhsa_system_sgpr_workgroup_id_y 0
		.amdhsa_system_sgpr_workgroup_id_z 0
		.amdhsa_system_sgpr_workgroup_info 0
		.amdhsa_system_vgpr_workitem_id 0
		.amdhsa_next_free_vgpr 37
		.amdhsa_next_free_sgpr 93
		.amdhsa_reserve_vcc 1
		.amdhsa_reserve_flat_scratch 0
		.amdhsa_float_round_mode_32 0
		.amdhsa_float_round_mode_16_64 0
		.amdhsa_float_denorm_mode_32 3
		.amdhsa_float_denorm_mode_16_64 3
		.amdhsa_dx10_clamp 1
		.amdhsa_ieee_mode 1
		.amdhsa_fp16_overflow 0
		.amdhsa_exception_fp_ieee_invalid_op 0
		.amdhsa_exception_fp_denorm_src 0
		.amdhsa_exception_fp_ieee_div_zero 0
		.amdhsa_exception_fp_ieee_overflow 0
		.amdhsa_exception_fp_ieee_underflow 0
		.amdhsa_exception_fp_ieee_inexact 0
		.amdhsa_exception_int_div_zero 0
	.end_amdhsa_kernel
	.section	.text._Z11rank_kernelILj512ELj2ELj4ELb0EL18RadixRankAlgorithm0EfEvPKT4_Pijj,"axG",@progbits,_Z11rank_kernelILj512ELj2ELj4ELb0EL18RadixRankAlgorithm0EfEvPKT4_Pijj,comdat
.Lfunc_end11:
	.size	_Z11rank_kernelILj512ELj2ELj4ELb0EL18RadixRankAlgorithm0EfEvPKT4_Pijj, .Lfunc_end11-_Z11rank_kernelILj512ELj2ELj4ELb0EL18RadixRankAlgorithm0EfEvPKT4_Pijj
                                        ; -- End function
	.set _Z11rank_kernelILj512ELj2ELj4ELb0EL18RadixRankAlgorithm0EfEvPKT4_Pijj.num_vgpr, 19
	.set _Z11rank_kernelILj512ELj2ELj4ELb0EL18RadixRankAlgorithm0EfEvPKT4_Pijj.num_agpr, 0
	.set _Z11rank_kernelILj512ELj2ELj4ELb0EL18RadixRankAlgorithm0EfEvPKT4_Pijj.numbered_sgpr, 10
	.set _Z11rank_kernelILj512ELj2ELj4ELb0EL18RadixRankAlgorithm0EfEvPKT4_Pijj.num_named_barrier, 0
	.set _Z11rank_kernelILj512ELj2ELj4ELb0EL18RadixRankAlgorithm0EfEvPKT4_Pijj.private_seg_size, 0
	.set _Z11rank_kernelILj512ELj2ELj4ELb0EL18RadixRankAlgorithm0EfEvPKT4_Pijj.uses_vcc, 1
	.set _Z11rank_kernelILj512ELj2ELj4ELb0EL18RadixRankAlgorithm0EfEvPKT4_Pijj.uses_flat_scratch, 0
	.set _Z11rank_kernelILj512ELj2ELj4ELb0EL18RadixRankAlgorithm0EfEvPKT4_Pijj.has_dyn_sized_stack, 0
	.set _Z11rank_kernelILj512ELj2ELj4ELb0EL18RadixRankAlgorithm0EfEvPKT4_Pijj.has_recursion, 0
	.set _Z11rank_kernelILj512ELj2ELj4ELb0EL18RadixRankAlgorithm0EfEvPKT4_Pijj.has_indirect_call, 0
	.section	.AMDGPU.csdata,"",@progbits
; Kernel info:
; codeLenInByte = 992
; TotalNumSgprs: 14
; NumVgprs: 19
; ScratchSize: 0
; MemoryBound: 0
; FloatMode: 240
; IeeeMode: 1
; LDSByteSize: 16416 bytes/workgroup (compile time only)
; SGPRBlocks: 12
; VGPRBlocks: 9
; NumSGPRsForWavesPerEU: 97
; NumVGPRsForWavesPerEU: 37
; Occupancy: 6
; WaveLimiterHint : 0
; COMPUTE_PGM_RSRC2:SCRATCH_EN: 0
; COMPUTE_PGM_RSRC2:USER_SGPR: 6
; COMPUTE_PGM_RSRC2:TRAP_HANDLER: 0
; COMPUTE_PGM_RSRC2:TGID_X_EN: 1
; COMPUTE_PGM_RSRC2:TGID_Y_EN: 0
; COMPUTE_PGM_RSRC2:TGID_Z_EN: 0
; COMPUTE_PGM_RSRC2:TIDIG_COMP_CNT: 0
	.section	.text._Z11rank_kernelILj256ELj7ELj4ELb0EL18RadixRankAlgorithm0EtEvPKT4_Pijj,"axG",@progbits,_Z11rank_kernelILj256ELj7ELj4ELb0EL18RadixRankAlgorithm0EtEvPKT4_Pijj,comdat
	.protected	_Z11rank_kernelILj256ELj7ELj4ELb0EL18RadixRankAlgorithm0EtEvPKT4_Pijj ; -- Begin function _Z11rank_kernelILj256ELj7ELj4ELb0EL18RadixRankAlgorithm0EtEvPKT4_Pijj
	.globl	_Z11rank_kernelILj256ELj7ELj4ELb0EL18RadixRankAlgorithm0EtEvPKT4_Pijj
	.p2align	8
	.type	_Z11rank_kernelILj256ELj7ELj4ELb0EL18RadixRankAlgorithm0EtEvPKT4_Pijj,@function
_Z11rank_kernelILj256ELj7ELj4ELb0EL18RadixRankAlgorithm0EtEvPKT4_Pijj: ; @_Z11rank_kernelILj256ELj7ELj4ELb0EL18RadixRankAlgorithm0EtEvPKT4_Pijj
; %bb.0:
	s_load_dwordx4 s[0:3], s[4:5], 0x0
	s_mulk_i32 s6, 0x700
	s_mov_b32 s7, 0
	s_lshl_b64 s[8:9], s[6:7], 1
	v_mul_u32_u24_e32 v4, 7, v0
	s_waitcnt lgkmcnt(0)
	s_add_u32 s0, s0, s8
	s_addc_u32 s1, s1, s9
	v_lshlrev_b32_e32 v5, 1, v4
	global_load_dwordx3 v[1:3], v5, s[0:1]
	global_load_ushort v14, v5, s[0:1] offset:12
	s_movk_i32 s8, 0x700
	v_or_b32_e32 v7, 0x400, v0
	v_mov_b32_e32 v6, 0
	v_lshlrev_b32_e32 v5, 2, v0
	v_cmp_gt_u32_e32 vcc, s8, v7
	ds_write2st64_b32 v5, v6, v6 offset1:4
	ds_write2st64_b32 v5, v6, v6 offset0:8 offset1:12
	ds_write_b32 v5, v6 offset:4096
	s_and_saveexec_b64 s[0:1], vcc
	s_cbranch_execz .LBB12_4
; %bb.1:
	s_movk_i32 s9, 0x200
	v_cmp_gt_u32_e32 vcc, s9, v0
	ds_write_b32 v5, v6 offset:5120
	s_and_b64 exec, exec, vcc
	s_cbranch_execz .LBB12_4
; %bb.2:
	s_movk_i32 s9, 0x100
	v_mov_b32_e32 v6, 0
	v_cmp_gt_u32_e32 vcc, s9, v0
	ds_write_b32 v5, v6 offset:6144
	s_and_b64 exec, exec, vcc
; %bb.3:
	ds_write_b32 v5, v6 offset:7168
.LBB12_4:
	s_or_b64 exec, exec, s[0:1]
	s_load_dwordx2 s[0:1], s[4:5], 0x10
	s_waitcnt lgkmcnt(0)
	s_and_b32 s1, s1, 31
	s_cmp_eq_u32 s1, 0
	s_cselect_b64 s[4:5], -1, 0
	s_and_b32 s0, s0, 31
	s_add_i32 s0, s0, s1
	s_sub_i32 s0, 32, s0
	s_sub_i32 s9, 32, s1
	s_waitcnt vmcnt(1)
	v_lshlrev_b32_sdwa v5, s0, v1 dst_sel:DWORD dst_unused:UNUSED_PAD src0_sel:DWORD src1_sel:WORD_0
	v_bfe_u32 v5, v5, s9, 16
	v_cndmask_b32_e64 v5, v5, 0, s[4:5]
	v_lshlrev_b32_e32 v6, 8, v5
	v_lshrrev_b32_e32 v5, 2, v5
	v_and_or_b32 v6, v6, s8, v0
	v_and_b32_e32 v5, 0x3ffe, v5
	v_lshl_add_u32 v6, v6, 2, v5
	ds_read_u16 v5, v6
	v_lshlrev_b32_sdwa v1, s0, v1 dst_sel:DWORD dst_unused:UNUSED_PAD src0_sel:DWORD src1_sel:WORD_1
	v_bfe_u32 v1, v1, s9, 16
	v_cndmask_b32_e64 v1, v1, 0, s[4:5]
	v_lshlrev_b32_e32 v7, 8, v1
	v_lshrrev_b32_e32 v1, 2, v1
	s_waitcnt lgkmcnt(0)
	v_add_u16_e32 v8, 1, v5
	v_and_or_b32 v7, v7, s8, v0
	v_and_b32_e32 v1, 0x3ffe, v1
	ds_write_b16 v6, v8
	v_lshl_add_u32 v8, v7, 2, v1
	ds_read_u16 v1, v8
	s_waitcnt vmcnt(0)
	v_lshlrev_b32_sdwa v14, s0, v14 dst_sel:DWORD dst_unused:UNUSED_PAD src0_sel:DWORD src1_sel:WORD_0
	v_bfe_u32 v14, v14, s9, 16
	v_cndmask_b32_e64 v14, v14, 0, s[4:5]
	s_waitcnt lgkmcnt(0)
	v_add_u16_e32 v7, 1, v1
	ds_write_b16 v8, v7
	v_lshlrev_b32_sdwa v7, s0, v2 dst_sel:DWORD dst_unused:UNUSED_PAD src0_sel:DWORD src1_sel:WORD_0
	v_bfe_u32 v7, v7, s9, 16
	v_cndmask_b32_e64 v7, v7, 0, s[4:5]
	v_lshlrev_b32_e32 v9, 8, v7
	v_lshrrev_b32_e32 v7, 2, v7
	v_and_or_b32 v9, v9, s8, v0
	v_and_b32_e32 v7, 0x3ffe, v7
	v_lshl_add_u32 v9, v9, 2, v7
	ds_read_u16 v7, v9
	v_lshlrev_b32_sdwa v2, s0, v2 dst_sel:DWORD dst_unused:UNUSED_PAD src0_sel:DWORD src1_sel:WORD_1
	v_bfe_u32 v2, v2, s9, 16
	v_cndmask_b32_e64 v2, v2, 0, s[4:5]
	s_waitcnt lgkmcnt(0)
	v_add_u16_e32 v10, 1, v7
	ds_write_b16 v9, v10
	v_lshlrev_b32_e32 v10, 8, v2
	v_lshrrev_b32_e32 v2, 2, v2
	v_and_or_b32 v10, v10, s8, v0
	v_and_b32_e32 v2, 0x3ffe, v2
	v_lshl_add_u32 v10, v10, 2, v2
	ds_read_u16 v2, v10
	s_waitcnt lgkmcnt(0)
	v_add_u16_e32 v11, 1, v2
	ds_write_b16 v10, v11
	v_lshlrev_b32_sdwa v11, s0, v3 dst_sel:DWORD dst_unused:UNUSED_PAD src0_sel:DWORD src1_sel:WORD_0
	v_bfe_u32 v11, v11, s9, 16
	v_cndmask_b32_e64 v11, v11, 0, s[4:5]
	v_lshlrev_b32_e32 v12, 8, v11
	v_lshrrev_b32_e32 v11, 2, v11
	v_and_or_b32 v12, v12, s8, v0
	v_and_b32_e32 v11, 0x3ffe, v11
	v_lshl_add_u32 v12, v12, 2, v11
	ds_read_u16 v11, v12
	v_lshlrev_b32_sdwa v3, s0, v3 dst_sel:DWORD dst_unused:UNUSED_PAD src0_sel:DWORD src1_sel:WORD_1
	v_bfe_u32 v3, v3, s9, 16
	v_cndmask_b32_e64 v3, v3, 0, s[4:5]
	s_waitcnt lgkmcnt(0)
	v_add_u16_e32 v13, 1, v11
	ds_write_b16 v12, v13
	v_lshlrev_b32_e32 v13, 8, v3
	v_lshrrev_b32_e32 v3, 2, v3
	v_and_or_b32 v13, v13, s8, v0
	v_and_b32_e32 v3, 0x3ffe, v3
	v_lshl_add_u32 v13, v13, 2, v3
	ds_read_u16 v3, v13
	s_waitcnt lgkmcnt(0)
	v_add_u16_e32 v15, 1, v3
	ds_write_b16 v13, v15
	v_lshlrev_b32_e32 v15, 8, v14
	v_lshrrev_b32_e32 v14, 2, v14
	v_and_or_b32 v15, v15, s8, v0
	v_and_b32_e32 v14, 0x3ffe, v14
	v_lshl_add_u32 v15, v15, 2, v14
	ds_read_u16 v14, v15
	s_waitcnt lgkmcnt(0)
	v_add_u16_e32 v16, 1, v14
	ds_write_b16 v15, v16
	v_lshlrev_b32_e32 v16, 5, v0
	s_waitcnt lgkmcnt(0)
	s_barrier
	ds_read_b128 v[17:20], v16
	ds_read_b128 v[21:24], v16 offset:16
	s_waitcnt lgkmcnt(1)
	v_add_u32_e32 v17, v18, v17
	v_add3_u32 v17, v17, v19, v20
	s_waitcnt lgkmcnt(0)
	v_add3_u32 v17, v17, v21, v22
	v_add3_u32 v18, v17, v23, v24
	v_mbcnt_lo_u32_b32 v17, -1, 0
	v_mbcnt_hi_u32_b32 v17, -1, v17
	v_and_b32_e32 v19, 15, v17
	v_mov_b32_dpp v20, v18 row_shr:1 row_mask:0xf bank_mask:0xf
	v_cmp_ne_u32_e32 vcc, 0, v19
	v_cndmask_b32_e32 v20, 0, v20, vcc
	v_add_u32_e32 v18, v20, v18
	v_cmp_lt_u32_e32 vcc, 1, v19
	s_nop 0
	v_mov_b32_dpp v20, v18 row_shr:2 row_mask:0xf bank_mask:0xf
	v_cndmask_b32_e32 v20, 0, v20, vcc
	v_add_u32_e32 v18, v18, v20
	v_cmp_lt_u32_e32 vcc, 3, v19
	s_nop 0
	v_mov_b32_dpp v20, v18 row_shr:4 row_mask:0xf bank_mask:0xf
	;; [unrolled: 5-line block ×3, first 2 shown]
	v_cndmask_b32_e32 v19, 0, v20, vcc
	v_add_u32_e32 v18, v18, v19
	v_bfe_i32 v20, v17, 4, 1
	v_cmp_lt_u32_e32 vcc, 31, v17
	v_mov_b32_dpp v19, v18 row_bcast:15 row_mask:0xf bank_mask:0xf
	v_and_b32_e32 v19, v20, v19
	v_add_u32_e32 v18, v18, v19
	v_or_b32_e32 v20, 63, v0
	s_nop 0
	v_mov_b32_dpp v19, v18 row_bcast:31 row_mask:0xf bank_mask:0xf
	v_cndmask_b32_e32 v19, 0, v19, vcc
	v_add_u32_e32 v18, v18, v19
	v_lshrrev_b32_e32 v19, 6, v0
	v_cmp_eq_u32_e32 vcc, v0, v20
	v_lshlrev_b32_e32 v19, 2, v19
	s_and_saveexec_b64 s[0:1], vcc
; %bb.5:
	ds_write_b32 v19, v18 offset:8192
; %bb.6:
	s_or_b64 exec, exec, s[0:1]
	v_cmp_gt_u32_e32 vcc, 4, v0
	s_waitcnt lgkmcnt(0)
	s_barrier
	s_and_saveexec_b64 s[0:1], vcc
	s_cbranch_execz .LBB12_8
; %bb.7:
	s_movk_i32 s4, 0xffe4
	v_mad_i32_i24 v20, v0, s4, v16
	ds_read_b32 v21, v20 offset:8192
	v_and_b32_e32 v22, 3, v17
	v_cmp_ne_u32_e32 vcc, 0, v22
	s_waitcnt lgkmcnt(0)
	v_mov_b32_dpp v23, v21 row_shr:1 row_mask:0xf bank_mask:0xf
	v_cndmask_b32_e32 v23, 0, v23, vcc
	v_add_u32_e32 v21, v23, v21
	v_cmp_lt_u32_e32 vcc, 1, v22
	s_nop 0
	v_mov_b32_dpp v23, v21 row_shr:2 row_mask:0xf bank_mask:0xf
	v_cndmask_b32_e32 v22, 0, v23, vcc
	v_add_u32_e32 v21, v21, v22
	ds_write_b32 v20, v21 offset:8192
.LBB12_8:
	s_or_b64 exec, exec, s[0:1]
	v_cmp_lt_u32_e32 vcc, 63, v0
	v_mov_b32_e32 v20, 0
	v_mov_b32_e32 v0, 0
	s_waitcnt lgkmcnt(0)
	s_barrier
	s_and_saveexec_b64 s[0:1], vcc
; %bb.9:
	ds_read_b32 v0, v19 offset:8188
; %bb.10:
	s_or_b64 exec, exec, s[0:1]
	v_subrev_co_u32_e32 v19, vcc, 1, v17
	v_and_b32_e32 v21, 64, v17
	v_cmp_lt_i32_e64 s[0:1], v19, v21
	v_cndmask_b32_e64 v17, v19, v17, s[0:1]
	s_waitcnt lgkmcnt(0)
	v_add_u32_e32 v18, v0, v18
	v_lshlrev_b32_e32 v17, 2, v17
	ds_bpermute_b32 v21, v17, v18
	ds_read_b32 v22, v20 offset:8204
	ds_read_b128 v[17:20], v16
	ds_read_b96 v[25:27], v16 offset:16
	s_lshl_b64 s[0:1], s[6:7], 2
	s_add_u32 s0, s2, s0
	s_waitcnt lgkmcnt(3)
	v_cndmask_b32_e32 v0, v21, v0, vcc
	s_waitcnt lgkmcnt(2)
	v_lshl_add_u32 v21, v22, 16, v0
	s_waitcnt lgkmcnt(1)
	v_add_u32_e32 v22, v21, v17
	v_add_u32_e32 v23, v18, v22
	;; [unrolled: 1-line block ×4, first 2 shown]
	s_waitcnt lgkmcnt(0)
	v_add_u32_e32 v18, v25, v17
	v_add_u32_e32 v19, v26, v18
	;; [unrolled: 1-line block ×3, first 2 shown]
	ds_write_b128 v16, v[21:24]
	ds_write_b128 v16, v[17:20] offset:16
	s_waitcnt lgkmcnt(0)
	s_barrier
	ds_read_u16 v0, v6
	ds_read_u16 v6, v8
	;; [unrolled: 1-line block ×7, first 2 shown]
	s_waitcnt lgkmcnt(6)
	v_add_u32_sdwa v5, v0, v5 dst_sel:DWORD dst_unused:UNUSED_PAD src0_sel:DWORD src1_sel:WORD_0
	s_waitcnt lgkmcnt(5)
	v_add_u32_sdwa v6, v6, v1 dst_sel:DWORD dst_unused:UNUSED_PAD src0_sel:DWORD src1_sel:WORD_0
	s_waitcnt lgkmcnt(4)
	v_add_u32_sdwa v7, v8, v7 dst_sel:DWORD dst_unused:UNUSED_PAD src0_sel:DWORD src1_sel:WORD_0
	s_waitcnt lgkmcnt(3)
	v_add_u32_sdwa v8, v9, v2 dst_sel:DWORD dst_unused:UNUSED_PAD src0_sel:DWORD src1_sel:WORD_0
	s_waitcnt lgkmcnt(1)
	v_add_u32_sdwa v1, v12, v3 dst_sel:DWORD dst_unused:UNUSED_PAD src0_sel:DWORD src1_sel:WORD_0
	s_addc_u32 s1, s3, s1
	v_lshlrev_b32_e32 v3, 2, v4
	v_add_u32_sdwa v0, v10, v11 dst_sel:DWORD dst_unused:UNUSED_PAD src0_sel:DWORD src1_sel:WORD_0
	s_waitcnt lgkmcnt(0)
	v_add_u32_sdwa v2, v13, v14 dst_sel:DWORD dst_unused:UNUSED_PAD src0_sel:DWORD src1_sel:WORD_0
	global_store_dwordx4 v3, v[5:8], s[0:1]
	global_store_dwordx3 v3, v[0:2], s[0:1] offset:16
	s_endpgm
	.section	.rodata,"a",@progbits
	.p2align	6, 0x0
	.amdhsa_kernel _Z11rank_kernelILj256ELj7ELj4ELb0EL18RadixRankAlgorithm0EtEvPKT4_Pijj
		.amdhsa_group_segment_fixed_size 8208
		.amdhsa_private_segment_fixed_size 0
		.amdhsa_kernarg_size 24
		.amdhsa_user_sgpr_count 6
		.amdhsa_user_sgpr_private_segment_buffer 1
		.amdhsa_user_sgpr_dispatch_ptr 0
		.amdhsa_user_sgpr_queue_ptr 0
		.amdhsa_user_sgpr_kernarg_segment_ptr 1
		.amdhsa_user_sgpr_dispatch_id 0
		.amdhsa_user_sgpr_flat_scratch_init 0
		.amdhsa_user_sgpr_private_segment_size 0
		.amdhsa_uses_dynamic_stack 0
		.amdhsa_system_sgpr_private_segment_wavefront_offset 0
		.amdhsa_system_sgpr_workgroup_id_x 1
		.amdhsa_system_sgpr_workgroup_id_y 0
		.amdhsa_system_sgpr_workgroup_id_z 0
		.amdhsa_system_sgpr_workgroup_info 0
		.amdhsa_system_vgpr_workitem_id 0
		.amdhsa_next_free_vgpr 33
		.amdhsa_next_free_sgpr 77
		.amdhsa_reserve_vcc 1
		.amdhsa_reserve_flat_scratch 0
		.amdhsa_float_round_mode_32 0
		.amdhsa_float_round_mode_16_64 0
		.amdhsa_float_denorm_mode_32 3
		.amdhsa_float_denorm_mode_16_64 3
		.amdhsa_dx10_clamp 1
		.amdhsa_ieee_mode 1
		.amdhsa_fp16_overflow 0
		.amdhsa_exception_fp_ieee_invalid_op 0
		.amdhsa_exception_fp_denorm_src 0
		.amdhsa_exception_fp_ieee_div_zero 0
		.amdhsa_exception_fp_ieee_overflow 0
		.amdhsa_exception_fp_ieee_underflow 0
		.amdhsa_exception_fp_ieee_inexact 0
		.amdhsa_exception_int_div_zero 0
	.end_amdhsa_kernel
	.section	.text._Z11rank_kernelILj256ELj7ELj4ELb0EL18RadixRankAlgorithm0EtEvPKT4_Pijj,"axG",@progbits,_Z11rank_kernelILj256ELj7ELj4ELb0EL18RadixRankAlgorithm0EtEvPKT4_Pijj,comdat
.Lfunc_end12:
	.size	_Z11rank_kernelILj256ELj7ELj4ELb0EL18RadixRankAlgorithm0EtEvPKT4_Pijj, .Lfunc_end12-_Z11rank_kernelILj256ELj7ELj4ELb0EL18RadixRankAlgorithm0EtEvPKT4_Pijj
                                        ; -- End function
	.set _Z11rank_kernelILj256ELj7ELj4ELb0EL18RadixRankAlgorithm0EtEvPKT4_Pijj.num_vgpr, 28
	.set _Z11rank_kernelILj256ELj7ELj4ELb0EL18RadixRankAlgorithm0EtEvPKT4_Pijj.num_agpr, 0
	.set _Z11rank_kernelILj256ELj7ELj4ELb0EL18RadixRankAlgorithm0EtEvPKT4_Pijj.numbered_sgpr, 10
	.set _Z11rank_kernelILj256ELj7ELj4ELb0EL18RadixRankAlgorithm0EtEvPKT4_Pijj.num_named_barrier, 0
	.set _Z11rank_kernelILj256ELj7ELj4ELb0EL18RadixRankAlgorithm0EtEvPKT4_Pijj.private_seg_size, 0
	.set _Z11rank_kernelILj256ELj7ELj4ELb0EL18RadixRankAlgorithm0EtEvPKT4_Pijj.uses_vcc, 1
	.set _Z11rank_kernelILj256ELj7ELj4ELb0EL18RadixRankAlgorithm0EtEvPKT4_Pijj.uses_flat_scratch, 0
	.set _Z11rank_kernelILj256ELj7ELj4ELb0EL18RadixRankAlgorithm0EtEvPKT4_Pijj.has_dyn_sized_stack, 0
	.set _Z11rank_kernelILj256ELj7ELj4ELb0EL18RadixRankAlgorithm0EtEvPKT4_Pijj.has_recursion, 0
	.set _Z11rank_kernelILj256ELj7ELj4ELb0EL18RadixRankAlgorithm0EtEvPKT4_Pijj.has_indirect_call, 0
	.section	.AMDGPU.csdata,"",@progbits
; Kernel info:
; codeLenInByte = 1496
; TotalNumSgprs: 14
; NumVgprs: 28
; ScratchSize: 0
; MemoryBound: 0
; FloatMode: 240
; IeeeMode: 1
; LDSByteSize: 8208 bytes/workgroup (compile time only)
; SGPRBlocks: 10
; VGPRBlocks: 8
; NumSGPRsForWavesPerEU: 81
; NumVGPRsForWavesPerEU: 33
; Occupancy: 7
; WaveLimiterHint : 0
; COMPUTE_PGM_RSRC2:SCRATCH_EN: 0
; COMPUTE_PGM_RSRC2:USER_SGPR: 6
; COMPUTE_PGM_RSRC2:TRAP_HANDLER: 0
; COMPUTE_PGM_RSRC2:TGID_X_EN: 1
; COMPUTE_PGM_RSRC2:TGID_Y_EN: 0
; COMPUTE_PGM_RSRC2:TGID_Z_EN: 0
; COMPUTE_PGM_RSRC2:TIDIG_COMP_CNT: 0
	.section	.text._Z11rank_kernelILj128ELj4ELj4ELb0EL18RadixRankAlgorithm0EiEvPKT4_Pijj,"axG",@progbits,_Z11rank_kernelILj128ELj4ELj4ELb0EL18RadixRankAlgorithm0EiEvPKT4_Pijj,comdat
	.protected	_Z11rank_kernelILj128ELj4ELj4ELb0EL18RadixRankAlgorithm0EiEvPKT4_Pijj ; -- Begin function _Z11rank_kernelILj128ELj4ELj4ELb0EL18RadixRankAlgorithm0EiEvPKT4_Pijj
	.globl	_Z11rank_kernelILj128ELj4ELj4ELb0EL18RadixRankAlgorithm0EiEvPKT4_Pijj
	.p2align	8
	.type	_Z11rank_kernelILj128ELj4ELj4ELb0EL18RadixRankAlgorithm0EiEvPKT4_Pijj,@function
_Z11rank_kernelILj128ELj4ELj4ELb0EL18RadixRankAlgorithm0EiEvPKT4_Pijj: ; @_Z11rank_kernelILj128ELj4ELj4ELb0EL18RadixRankAlgorithm0EiEvPKT4_Pijj
; %bb.0:
	s_load_dwordx4 s[0:3], s[4:5], 0x0
	s_lshl_b32 s6, s6, 9
	s_mov_b32 s7, 0
	s_lshl_b64 s[6:7], s[6:7], 2
	v_lshlrev_b32_e32 v1, 4, v0
	s_waitcnt lgkmcnt(0)
	s_add_u32 s0, s0, s6
	s_addc_u32 s1, s1, s7
	global_load_dwordx4 v[1:4], v1, s[0:1]
	s_movk_i32 s8, 0x380
	v_lshlrev_b32_e32 v5, 2, v0
	v_mov_b32_e32 v6, 0
	v_cmp_gt_u32_e32 vcc, s8, v0
	ds_write_b32 v5, v6
	s_and_saveexec_b64 s[0:1], vcc
	s_cbranch_execz .LBB13_8
; %bb.1:
	s_movk_i32 s9, 0x300
	v_cmp_gt_u32_e32 vcc, s9, v0
	ds_write_b32 v5, v6 offset:512
	s_and_b64 exec, exec, vcc
	s_cbranch_execz .LBB13_8
; %bb.2:
	s_movk_i32 s9, 0x280
	v_mov_b32_e32 v6, 0
	v_cmp_gt_u32_e32 vcc, s9, v0
	ds_write_b32 v5, v6 offset:1024
	s_and_b64 exec, exec, vcc
	s_cbranch_execz .LBB13_8
; %bb.3:
	s_movk_i32 s9, 0x200
	v_cmp_gt_u32_e32 vcc, s9, v0
	ds_write_b32 v5, v6 offset:1536
	s_and_b64 exec, exec, vcc
	s_cbranch_execz .LBB13_8
; %bb.4:
	s_movk_i32 s9, 0x180
	v_mov_b32_e32 v6, 0
	v_cmp_gt_u32_e32 vcc, s9, v0
	ds_write_b32 v5, v6 offset:2048
	s_and_b64 exec, exec, vcc
	;; [unrolled: 13-line block ×3, first 2 shown]
; %bb.7:
	ds_write_b32 v5, v6 offset:3584
.LBB13_8:
	s_or_b64 exec, exec, s[0:1]
	s_load_dwordx2 s[0:1], s[4:5], 0x10
	s_waitcnt vmcnt(0)
	v_xor_b32_e32 v1, 0x80000000, v1
	v_xor_b32_e32 v2, 0x80000000, v2
	;; [unrolled: 1-line block ×4, first 2 shown]
	s_waitcnt lgkmcnt(0)
	s_and_b32 s1, s1, 31
	s_cmp_eq_u32 s1, 0
	s_cselect_b64 s[4:5], -1, 0
	s_and_b32 s0, s0, 31
	s_add_i32 s0, s0, s1
	s_sub_i32 s0, 32, s0
	s_sub_i32 s9, 32, s1
	v_lshlrev_b32_e32 v1, s0, v1
	v_lshrrev_b32_e32 v1, s9, v1
	v_cndmask_b32_e64 v1, v1, 0, s[4:5]
	v_lshlrev_b32_e32 v6, 7, v1
	v_lshrrev_b32_e32 v1, 2, v1
	v_and_or_b32 v6, v6, s8, v0
	v_and_b32_e32 v1, 0x3ffffffe, v1
	v_lshl_add_u32 v6, v6, 2, v1
	ds_read_u16 v1, v6
	v_lshlrev_b32_e32 v2, s0, v2
	v_lshrrev_b32_e32 v2, s9, v2
	v_cndmask_b32_e64 v2, v2, 0, s[4:5]
	v_lshlrev_b32_e32 v3, s0, v3
	s_waitcnt lgkmcnt(0)
	v_add_u16_e32 v7, 1, v1
	ds_write_b16 v6, v7
	v_lshlrev_b32_e32 v7, 7, v2
	v_lshrrev_b32_e32 v2, 2, v2
	v_and_or_b32 v7, v7, s8, v0
	v_and_b32_e32 v2, 0x3ffffffe, v2
	v_lshl_add_u32 v7, v7, 2, v2
	ds_read_u16 v2, v7
	v_lshrrev_b32_e32 v3, s9, v3
	v_cndmask_b32_e64 v3, v3, 0, s[4:5]
	v_lshlrev_b32_e32 v4, s0, v4
	v_lshrrev_b32_e32 v4, s9, v4
	s_waitcnt lgkmcnt(0)
	v_add_u16_e32 v8, 1, v2
	ds_write_b16 v7, v8
	v_lshlrev_b32_e32 v8, 7, v3
	v_lshrrev_b32_e32 v3, 2, v3
	v_and_or_b32 v8, v8, s8, v0
	v_and_b32_e32 v3, 0x3ffffffe, v3
	v_lshl_add_u32 v8, v8, 2, v3
	ds_read_u16 v3, v8
	v_cndmask_b32_e64 v4, v4, 0, s[4:5]
	s_waitcnt lgkmcnt(0)
	v_add_u16_e32 v9, 1, v3
	ds_write_b16 v8, v9
	v_lshlrev_b32_e32 v9, 7, v4
	v_lshrrev_b32_e32 v4, 2, v4
	v_and_or_b32 v9, v9, s8, v0
	v_and_b32_e32 v4, 0x3ffffffe, v4
	v_lshl_add_u32 v9, v9, 2, v4
	ds_read_u16 v4, v9
	s_waitcnt lgkmcnt(0)
	v_add_u16_e32 v10, 1, v4
	ds_write_b16 v9, v10
	v_mad_u32_u24 v10, v0, 28, v5
	s_waitcnt lgkmcnt(0)
	s_barrier
	ds_read_b128 v[11:14], v10
	ds_read_b128 v[15:18], v10 offset:16
	s_waitcnt lgkmcnt(1)
	v_add_u32_e32 v11, v12, v11
	v_add3_u32 v11, v11, v13, v14
	s_waitcnt lgkmcnt(0)
	v_add3_u32 v11, v11, v15, v16
	v_add3_u32 v12, v11, v17, v18
	v_mbcnt_lo_u32_b32 v11, -1, 0
	v_mbcnt_hi_u32_b32 v11, -1, v11
	v_and_b32_e32 v13, 15, v11
	v_mov_b32_dpp v14, v12 row_shr:1 row_mask:0xf bank_mask:0xf
	v_cmp_ne_u32_e32 vcc, 0, v13
	v_cndmask_b32_e32 v14, 0, v14, vcc
	v_add_u32_e32 v12, v14, v12
	v_cmp_lt_u32_e32 vcc, 1, v13
	s_nop 0
	v_mov_b32_dpp v14, v12 row_shr:2 row_mask:0xf bank_mask:0xf
	v_cndmask_b32_e32 v14, 0, v14, vcc
	v_add_u32_e32 v12, v12, v14
	v_cmp_lt_u32_e32 vcc, 3, v13
	s_nop 0
	v_mov_b32_dpp v14, v12 row_shr:4 row_mask:0xf bank_mask:0xf
	;; [unrolled: 5-line block ×3, first 2 shown]
	v_cndmask_b32_e32 v13, 0, v14, vcc
	v_add_u32_e32 v12, v12, v13
	v_bfe_i32 v14, v11, 4, 1
	v_cmp_lt_u32_e32 vcc, 31, v11
	v_mov_b32_dpp v13, v12 row_bcast:15 row_mask:0xf bank_mask:0xf
	v_and_b32_e32 v13, v14, v13
	v_add_u32_e32 v12, v12, v13
	v_or_b32_e32 v14, 63, v0
	s_nop 0
	v_mov_b32_dpp v13, v12 row_bcast:31 row_mask:0xf bank_mask:0xf
	v_cndmask_b32_e32 v13, 0, v13, vcc
	v_add_u32_e32 v12, v12, v13
	v_lshrrev_b32_e32 v13, 6, v0
	v_cmp_eq_u32_e32 vcc, v0, v14
	v_lshlrev_b32_e32 v13, 2, v13
	s_and_saveexec_b64 s[0:1], vcc
; %bb.9:
	ds_write_b32 v13, v12 offset:4096
; %bb.10:
	s_or_b64 exec, exec, s[0:1]
	v_cmp_gt_u32_e32 vcc, 2, v0
	s_waitcnt lgkmcnt(0)
	s_barrier
	s_and_saveexec_b64 s[0:1], vcc
	s_cbranch_execz .LBB13_12
; %bb.11:
	s_movk_i32 s4, 0xffe4
	v_mad_i32_i24 v14, v0, s4, v10
	ds_read_b32 v15, v14 offset:4096
	v_bfe_i32 v16, v11, 0, 1
	s_waitcnt lgkmcnt(0)
	v_mov_b32_dpp v17, v15 row_shr:1 row_mask:0xf bank_mask:0xf
	v_and_b32_e32 v16, v16, v17
	v_add_u32_e32 v15, v16, v15
	ds_write_b32 v14, v15 offset:4096
.LBB13_12:
	s_or_b64 exec, exec, s[0:1]
	v_cmp_lt_u32_e32 vcc, 63, v0
	v_mov_b32_e32 v14, 0
	v_mov_b32_e32 v0, 0
	s_waitcnt lgkmcnt(0)
	s_barrier
	s_and_saveexec_b64 s[0:1], vcc
; %bb.13:
	ds_read_b32 v0, v13 offset:4092
; %bb.14:
	s_or_b64 exec, exec, s[0:1]
	v_subrev_co_u32_e32 v13, vcc, 1, v11
	v_and_b32_e32 v15, 64, v11
	v_cmp_lt_i32_e64 s[0:1], v13, v15
	v_cndmask_b32_e64 v11, v13, v11, s[0:1]
	s_waitcnt lgkmcnt(0)
	v_add_u32_e32 v12, v0, v12
	v_lshlrev_b32_e32 v11, 2, v11
	ds_bpermute_b32 v15, v11, v12
	ds_read_b32 v16, v14 offset:4100
	ds_read_b128 v[11:14], v10
	ds_read_b96 v[19:21], v10 offset:16
	s_add_u32 s0, s2, s6
	s_addc_u32 s1, s3, s7
	s_waitcnt lgkmcnt(3)
	v_cndmask_b32_e32 v0, v15, v0, vcc
	s_waitcnt lgkmcnt(2)
	v_lshl_add_u32 v15, v16, 16, v0
	s_waitcnt lgkmcnt(1)
	v_add_u32_e32 v16, v15, v11
	v_add_u32_e32 v17, v12, v16
	;; [unrolled: 1-line block ×4, first 2 shown]
	s_waitcnt lgkmcnt(0)
	v_add_u32_e32 v12, v19, v11
	v_add_u32_e32 v13, v20, v12
	;; [unrolled: 1-line block ×3, first 2 shown]
	ds_write_b128 v10, v[15:18]
	ds_write_b128 v10, v[11:14] offset:16
	s_waitcnt lgkmcnt(0)
	s_barrier
	ds_read_u16 v0, v6
	ds_read_u16 v6, v7
	;; [unrolled: 1-line block ×4, first 2 shown]
	s_waitcnt lgkmcnt(3)
	v_add_u32_sdwa v0, v0, v1 dst_sel:DWORD dst_unused:UNUSED_PAD src0_sel:DWORD src1_sel:WORD_0
	s_waitcnt lgkmcnt(2)
	v_add_u32_sdwa v1, v6, v2 dst_sel:DWORD dst_unused:UNUSED_PAD src0_sel:DWORD src1_sel:WORD_0
	;; [unrolled: 2-line block ×4, first 2 shown]
	v_lshlrev_b32_e32 v4, 2, v5
	global_store_dwordx4 v4, v[0:3], s[0:1]
	s_endpgm
	.section	.rodata,"a",@progbits
	.p2align	6, 0x0
	.amdhsa_kernel _Z11rank_kernelILj128ELj4ELj4ELb0EL18RadixRankAlgorithm0EiEvPKT4_Pijj
		.amdhsa_group_segment_fixed_size 4112
		.amdhsa_private_segment_fixed_size 0
		.amdhsa_kernarg_size 24
		.amdhsa_user_sgpr_count 6
		.amdhsa_user_sgpr_private_segment_buffer 1
		.amdhsa_user_sgpr_dispatch_ptr 0
		.amdhsa_user_sgpr_queue_ptr 0
		.amdhsa_user_sgpr_kernarg_segment_ptr 1
		.amdhsa_user_sgpr_dispatch_id 0
		.amdhsa_user_sgpr_flat_scratch_init 0
		.amdhsa_user_sgpr_private_segment_size 0
		.amdhsa_uses_dynamic_stack 0
		.amdhsa_system_sgpr_private_segment_wavefront_offset 0
		.amdhsa_system_sgpr_workgroup_id_x 1
		.amdhsa_system_sgpr_workgroup_id_y 0
		.amdhsa_system_sgpr_workgroup_id_z 0
		.amdhsa_system_sgpr_workgroup_info 0
		.amdhsa_system_vgpr_workitem_id 0
		.amdhsa_next_free_vgpr 29
		.amdhsa_next_free_sgpr 61
		.amdhsa_reserve_vcc 1
		.amdhsa_reserve_flat_scratch 0
		.amdhsa_float_round_mode_32 0
		.amdhsa_float_round_mode_16_64 0
		.amdhsa_float_denorm_mode_32 3
		.amdhsa_float_denorm_mode_16_64 3
		.amdhsa_dx10_clamp 1
		.amdhsa_ieee_mode 1
		.amdhsa_fp16_overflow 0
		.amdhsa_exception_fp_ieee_invalid_op 0
		.amdhsa_exception_fp_denorm_src 0
		.amdhsa_exception_fp_ieee_div_zero 0
		.amdhsa_exception_fp_ieee_overflow 0
		.amdhsa_exception_fp_ieee_underflow 0
		.amdhsa_exception_fp_ieee_inexact 0
		.amdhsa_exception_int_div_zero 0
	.end_amdhsa_kernel
	.section	.text._Z11rank_kernelILj128ELj4ELj4ELb0EL18RadixRankAlgorithm0EiEvPKT4_Pijj,"axG",@progbits,_Z11rank_kernelILj128ELj4ELj4ELb0EL18RadixRankAlgorithm0EiEvPKT4_Pijj,comdat
.Lfunc_end13:
	.size	_Z11rank_kernelILj128ELj4ELj4ELb0EL18RadixRankAlgorithm0EiEvPKT4_Pijj, .Lfunc_end13-_Z11rank_kernelILj128ELj4ELj4ELb0EL18RadixRankAlgorithm0EiEvPKT4_Pijj
                                        ; -- End function
	.set _Z11rank_kernelILj128ELj4ELj4ELb0EL18RadixRankAlgorithm0EiEvPKT4_Pijj.num_vgpr, 22
	.set _Z11rank_kernelILj128ELj4ELj4ELb0EL18RadixRankAlgorithm0EiEvPKT4_Pijj.num_agpr, 0
	.set _Z11rank_kernelILj128ELj4ELj4ELb0EL18RadixRankAlgorithm0EiEvPKT4_Pijj.numbered_sgpr, 10
	.set _Z11rank_kernelILj128ELj4ELj4ELb0EL18RadixRankAlgorithm0EiEvPKT4_Pijj.num_named_barrier, 0
	.set _Z11rank_kernelILj128ELj4ELj4ELb0EL18RadixRankAlgorithm0EiEvPKT4_Pijj.private_seg_size, 0
	.set _Z11rank_kernelILj128ELj4ELj4ELb0EL18RadixRankAlgorithm0EiEvPKT4_Pijj.uses_vcc, 1
	.set _Z11rank_kernelILj128ELj4ELj4ELb0EL18RadixRankAlgorithm0EiEvPKT4_Pijj.uses_flat_scratch, 0
	.set _Z11rank_kernelILj128ELj4ELj4ELb0EL18RadixRankAlgorithm0EiEvPKT4_Pijj.has_dyn_sized_stack, 0
	.set _Z11rank_kernelILj128ELj4ELj4ELb0EL18RadixRankAlgorithm0EiEvPKT4_Pijj.has_recursion, 0
	.set _Z11rank_kernelILj128ELj4ELj4ELb0EL18RadixRankAlgorithm0EiEvPKT4_Pijj.has_indirect_call, 0
	.section	.AMDGPU.csdata,"",@progbits
; Kernel info:
; codeLenInByte = 1232
; TotalNumSgprs: 14
; NumVgprs: 22
; ScratchSize: 0
; MemoryBound: 0
; FloatMode: 240
; IeeeMode: 1
; LDSByteSize: 4112 bytes/workgroup (compile time only)
; SGPRBlocks: 8
; VGPRBlocks: 7
; NumSGPRsForWavesPerEU: 65
; NumVGPRsForWavesPerEU: 29
; Occupancy: 8
; WaveLimiterHint : 0
; COMPUTE_PGM_RSRC2:SCRATCH_EN: 0
; COMPUTE_PGM_RSRC2:USER_SGPR: 6
; COMPUTE_PGM_RSRC2:TRAP_HANDLER: 0
; COMPUTE_PGM_RSRC2:TGID_X_EN: 1
; COMPUTE_PGM_RSRC2:TGID_Y_EN: 0
; COMPUTE_PGM_RSRC2:TGID_Z_EN: 0
; COMPUTE_PGM_RSRC2:TIDIG_COMP_CNT: 0
	.section	.text._Z11rank_kernelILj64ELj2ELj4ELb1EL18RadixRankAlgorithm0EyEvPKT4_Pijj,"axG",@progbits,_Z11rank_kernelILj64ELj2ELj4ELb1EL18RadixRankAlgorithm0EyEvPKT4_Pijj,comdat
	.protected	_Z11rank_kernelILj64ELj2ELj4ELb1EL18RadixRankAlgorithm0EyEvPKT4_Pijj ; -- Begin function _Z11rank_kernelILj64ELj2ELj4ELb1EL18RadixRankAlgorithm0EyEvPKT4_Pijj
	.globl	_Z11rank_kernelILj64ELj2ELj4ELb1EL18RadixRankAlgorithm0EyEvPKT4_Pijj
	.p2align	8
	.type	_Z11rank_kernelILj64ELj2ELj4ELb1EL18RadixRankAlgorithm0EyEvPKT4_Pijj,@function
_Z11rank_kernelILj64ELj2ELj4ELb1EL18RadixRankAlgorithm0EyEvPKT4_Pijj: ; @_Z11rank_kernelILj64ELj2ELj4ELb1EL18RadixRankAlgorithm0EyEvPKT4_Pijj
; %bb.0:
	s_load_dwordx4 s[0:3], s[4:5], 0x0
	s_lshl_b32 s6, s6, 7
	s_mov_b32 s7, 0
	s_lshl_b64 s[8:9], s[6:7], 3
	v_lshlrev_b32_e32 v1, 4, v0
	s_waitcnt lgkmcnt(0)
	s_add_u32 s0, s0, s8
	s_addc_u32 s1, s1, s9
	global_load_dwordx4 v[1:4], v1, s[0:1]
	s_movk_i32 s0, 0x200
	v_mov_b32_e32 v6, 0
	v_cmp_gt_u32_e32 vcc, s0, v0
	s_and_saveexec_b64 s[0:1], vcc
	s_cbranch_execz .LBB14_9
; %bb.1:
	s_movk_i32 s8, 0x1c0
	v_lshlrev_b32_e32 v5, 2, v0
	v_cmp_gt_u32_e32 vcc, s8, v0
	ds_write_b32 v5, v6
	s_and_b64 exec, exec, vcc
	s_cbranch_execz .LBB14_9
; %bb.2:
	s_movk_i32 s8, 0x180
	v_mov_b32_e32 v6, 0
	v_cmp_gt_u32_e32 vcc, s8, v0
	ds_write_b32 v5, v6 offset:256
	s_and_b64 exec, exec, vcc
	s_cbranch_execz .LBB14_9
; %bb.3:
	s_movk_i32 s8, 0x140
	v_cmp_gt_u32_e32 vcc, s8, v0
	ds_write_b32 v5, v6 offset:512
	s_and_b64 exec, exec, vcc
	s_cbranch_execz .LBB14_9
; %bb.4:
	s_movk_i32 s8, 0x100
	v_mov_b32_e32 v6, 0
	v_cmp_gt_u32_e32 vcc, s8, v0
	ds_write_b32 v5, v6 offset:768
	s_and_b64 exec, exec, vcc
	s_cbranch_execz .LBB14_9
; %bb.5:
	s_movk_i32 s8, 0xc0
	v_cmp_gt_u32_e32 vcc, s8, v0
	ds_write_b32 v5, v6 offset:1024
	s_and_b64 exec, exec, vcc
	s_cbranch_execz .LBB14_9
; %bb.6:
	s_movk_i32 s8, 0x80
	v_mov_b32_e32 v6, 0
	v_cmp_gt_u32_e32 vcc, s8, v0
	ds_write_b32 v5, v6 offset:1280
	s_and_b64 exec, exec, vcc
	s_cbranch_execz .LBB14_9
; %bb.7:
	v_cmp_gt_u32_e32 vcc, 64, v0
	ds_write_b32 v5, v6 offset:1536
	s_and_b64 exec, exec, vcc
; %bb.8:
	v_mov_b32_e32 v6, 0
	ds_write_b32 v5, v6 offset:1792
.LBB14_9:
	s_or_b64 exec, exec, s[0:1]
	s_load_dwordx2 s[0:1], s[4:5], 0x10
	v_mov_b32_e32 v6, 15
	v_mov_b32_e32 v5, 15
	s_waitcnt lgkmcnt(0)
	s_and_b32 s8, s1, 63
	s_cmp_lg_u32 s8, 0
	s_cselect_b64 s[4:5], -1, 0
	s_sub_u32 s1, 64, s8
	s_and_b64 vcc, exec, s[4:5]
	s_cbranch_vccz .LBB14_11
; %bb.10:
	s_and_b32 s9, s0, 63
	s_add_i32 s9, s9, s8
	s_sub_i32 s9, 64, s9
	s_waitcnt vmcnt(0)
	v_lshlrev_b64 v[1:2], s9, v[1:2]
	v_lshrrev_b64 v[1:2], s1, v[1:2]
	v_xor_b32_e32 v5, 15, v1
.LBB14_11:
	s_waitcnt vmcnt(0)
	v_lshlrev_b32_e32 v1, 6, v5
	s_movk_i32 s9, 0x1c0
	v_lshrrev_b32_e32 v2, 2, v5
	v_and_or_b32 v1, v1, s9, v0
	v_and_b32_e32 v2, 0x3ffffffe, v2
	v_lshl_add_u32 v5, v1, 2, v2
	ds_read_u16 v2, v5
	v_lshlrev_b32_e32 v1, 1, v0
	s_andn2_b64 vcc, exec, s[4:5]
	s_waitcnt lgkmcnt(0)
	v_add_u16_e32 v7, 1, v2
	ds_write_b16 v5, v7
	s_cbranch_vccnz .LBB14_13
; %bb.12:
	s_and_b32 s0, s0, 63
	s_add_i32 s0, s0, s8
	s_sub_i32 s0, 64, s0
	v_lshlrev_b64 v[3:4], s0, v[3:4]
	v_lshrrev_b64 v[3:4], s1, v[3:4]
	v_xor_b32_e32 v6, 15, v3
.LBB14_13:
	v_lshlrev_b32_e32 v3, 6, v6
	v_lshrrev_b32_e32 v4, 2, v6
	v_and_or_b32 v3, v3, s9, v0
	v_and_b32_e32 v4, 0x3ffffffe, v4
	v_lshl_add_u32 v4, v3, 2, v4
	ds_read_u16 v3, v4
	v_mbcnt_lo_u32_b32 v15, -1, 0
	s_waitcnt lgkmcnt(0)
	v_add_u16_e32 v6, 1, v3
	ds_write_b16 v4, v6
	v_lshlrev_b32_e32 v6, 5, v0
	s_waitcnt lgkmcnt(0)
	; wave barrier
	ds_read_b128 v[7:10], v6
	ds_read_b128 v[11:14], v6 offset:16
	s_waitcnt lgkmcnt(1)
	v_add_u32_e32 v7, v8, v7
	v_add3_u32 v7, v7, v9, v10
	s_waitcnt lgkmcnt(0)
	v_add3_u32 v7, v7, v11, v12
	v_add3_u32 v8, v7, v13, v14
	v_mbcnt_hi_u32_b32 v7, -1, v15
	v_and_b32_e32 v9, 15, v7
	v_mov_b32_dpp v10, v8 row_shr:1 row_mask:0xf bank_mask:0xf
	v_cmp_ne_u32_e32 vcc, 0, v9
	v_cndmask_b32_e32 v10, 0, v10, vcc
	v_add_u32_e32 v8, v10, v8
	v_cmp_lt_u32_e32 vcc, 1, v9
	s_nop 0
	v_mov_b32_dpp v10, v8 row_shr:2 row_mask:0xf bank_mask:0xf
	v_cndmask_b32_e32 v10, 0, v10, vcc
	v_add_u32_e32 v8, v8, v10
	v_cmp_lt_u32_e32 vcc, 3, v9
	s_nop 0
	v_mov_b32_dpp v10, v8 row_shr:4 row_mask:0xf bank_mask:0xf
	v_cndmask_b32_e32 v10, 0, v10, vcc
	v_add_u32_e32 v8, v8, v10
	v_cmp_lt_u32_e32 vcc, 7, v9
	s_nop 0
	v_mov_b32_dpp v10, v8 row_shr:8 row_mask:0xf bank_mask:0xf
	v_cndmask_b32_e32 v9, 0, v10, vcc
	v_add_u32_e32 v8, v8, v9
	v_bfe_i32 v10, v7, 4, 1
	v_cmp_lt_u32_e32 vcc, 31, v7
	v_mov_b32_dpp v9, v8 row_bcast:15 row_mask:0xf bank_mask:0xf
	v_and_b32_e32 v9, v10, v9
	v_add_u32_e32 v8, v8, v9
	s_nop 1
	v_mov_b32_dpp v9, v8 row_bcast:31 row_mask:0xf bank_mask:0xf
	v_cndmask_b32_e32 v9, 0, v9, vcc
	v_add_u32_e32 v8, v8, v9
	v_cmp_eq_u32_e32 vcc, 63, v0
	s_and_saveexec_b64 s[0:1], vcc
; %bb.14:
	v_mov_b32_e32 v0, 0
	ds_write_b32 v0, v8 offset:2048
; %bb.15:
	s_or_b64 exec, exec, s[0:1]
	v_subrev_co_u32_e32 v0, vcc, 1, v7
	v_and_b32_e32 v9, 64, v7
	v_cmp_lt_i32_e64 s[0:1], v0, v9
	v_cndmask_b32_e64 v0, v0, v7, s[0:1]
	v_lshlrev_b32_e32 v0, 2, v0
	ds_bpermute_b32 v0, v0, v8
	v_mov_b32_e32 v7, 0
	s_waitcnt lgkmcnt(0)
	; wave barrier
	ds_read_b32 v11, v7 offset:2048
	ds_read_b128 v[7:10], v6
	v_cndmask_b32_e64 v0, v0, 0, vcc
	ds_read_b96 v[15:17], v6 offset:16
	s_lshl_b64 s[0:1], s[6:7], 2
	s_waitcnt lgkmcnt(2)
	v_lshl_add_u32 v11, v11, 16, v0
	s_waitcnt lgkmcnt(1)
	v_add_u32_e32 v12, v11, v7
	v_add_u32_e32 v13, v8, v12
	;; [unrolled: 1-line block ×4, first 2 shown]
	s_waitcnt lgkmcnt(0)
	v_add_u32_e32 v8, v15, v7
	v_add_u32_e32 v9, v16, v8
	;; [unrolled: 1-line block ×3, first 2 shown]
	ds_write_b128 v6, v[11:14]
	ds_write_b128 v6, v[7:10] offset:16
	s_waitcnt lgkmcnt(0)
	; wave barrier
	ds_read_u16 v0, v5
	ds_read_u16 v4, v4
	s_add_u32 s0, s2, s0
	s_addc_u32 s1, s3, s1
	s_waitcnt lgkmcnt(1)
	v_add_u32_sdwa v2, v0, v2 dst_sel:DWORD dst_unused:UNUSED_PAD src0_sel:DWORD src1_sel:WORD_0
	s_waitcnt lgkmcnt(0)
	v_add_u32_sdwa v3, v4, v3 dst_sel:DWORD dst_unused:UNUSED_PAD src0_sel:DWORD src1_sel:WORD_0
	v_lshlrev_b32_e32 v0, 2, v1
	global_store_dwordx2 v0, v[2:3], s[0:1]
	s_endpgm
	.section	.rodata,"a",@progbits
	.p2align	6, 0x0
	.amdhsa_kernel _Z11rank_kernelILj64ELj2ELj4ELb1EL18RadixRankAlgorithm0EyEvPKT4_Pijj
		.amdhsa_group_segment_fixed_size 2064
		.amdhsa_private_segment_fixed_size 0
		.amdhsa_kernarg_size 24
		.amdhsa_user_sgpr_count 6
		.amdhsa_user_sgpr_private_segment_buffer 1
		.amdhsa_user_sgpr_dispatch_ptr 0
		.amdhsa_user_sgpr_queue_ptr 0
		.amdhsa_user_sgpr_kernarg_segment_ptr 1
		.amdhsa_user_sgpr_dispatch_id 0
		.amdhsa_user_sgpr_flat_scratch_init 0
		.amdhsa_user_sgpr_private_segment_size 0
		.amdhsa_uses_dynamic_stack 0
		.amdhsa_system_sgpr_private_segment_wavefront_offset 0
		.amdhsa_system_sgpr_workgroup_id_x 1
		.amdhsa_system_sgpr_workgroup_id_y 0
		.amdhsa_system_sgpr_workgroup_id_z 0
		.amdhsa_system_sgpr_workgroup_info 0
		.amdhsa_system_vgpr_workitem_id 0
		.amdhsa_next_free_vgpr 29
		.amdhsa_next_free_sgpr 61
		.amdhsa_reserve_vcc 1
		.amdhsa_reserve_flat_scratch 0
		.amdhsa_float_round_mode_32 0
		.amdhsa_float_round_mode_16_64 0
		.amdhsa_float_denorm_mode_32 3
		.amdhsa_float_denorm_mode_16_64 3
		.amdhsa_dx10_clamp 1
		.amdhsa_ieee_mode 1
		.amdhsa_fp16_overflow 0
		.amdhsa_exception_fp_ieee_invalid_op 0
		.amdhsa_exception_fp_denorm_src 0
		.amdhsa_exception_fp_ieee_div_zero 0
		.amdhsa_exception_fp_ieee_overflow 0
		.amdhsa_exception_fp_ieee_underflow 0
		.amdhsa_exception_fp_ieee_inexact 0
		.amdhsa_exception_int_div_zero 0
	.end_amdhsa_kernel
	.section	.text._Z11rank_kernelILj64ELj2ELj4ELb1EL18RadixRankAlgorithm0EyEvPKT4_Pijj,"axG",@progbits,_Z11rank_kernelILj64ELj2ELj4ELb1EL18RadixRankAlgorithm0EyEvPKT4_Pijj,comdat
.Lfunc_end14:
	.size	_Z11rank_kernelILj64ELj2ELj4ELb1EL18RadixRankAlgorithm0EyEvPKT4_Pijj, .Lfunc_end14-_Z11rank_kernelILj64ELj2ELj4ELb1EL18RadixRankAlgorithm0EyEvPKT4_Pijj
                                        ; -- End function
	.set _Z11rank_kernelILj64ELj2ELj4ELb1EL18RadixRankAlgorithm0EyEvPKT4_Pijj.num_vgpr, 18
	.set _Z11rank_kernelILj64ELj2ELj4ELb1EL18RadixRankAlgorithm0EyEvPKT4_Pijj.num_agpr, 0
	.set _Z11rank_kernelILj64ELj2ELj4ELb1EL18RadixRankAlgorithm0EyEvPKT4_Pijj.numbered_sgpr, 10
	.set _Z11rank_kernelILj64ELj2ELj4ELb1EL18RadixRankAlgorithm0EyEvPKT4_Pijj.num_named_barrier, 0
	.set _Z11rank_kernelILj64ELj2ELj4ELb1EL18RadixRankAlgorithm0EyEvPKT4_Pijj.private_seg_size, 0
	.set _Z11rank_kernelILj64ELj2ELj4ELb1EL18RadixRankAlgorithm0EyEvPKT4_Pijj.uses_vcc, 1
	.set _Z11rank_kernelILj64ELj2ELj4ELb1EL18RadixRankAlgorithm0EyEvPKT4_Pijj.uses_flat_scratch, 0
	.set _Z11rank_kernelILj64ELj2ELj4ELb1EL18RadixRankAlgorithm0EyEvPKT4_Pijj.has_dyn_sized_stack, 0
	.set _Z11rank_kernelILj64ELj2ELj4ELb1EL18RadixRankAlgorithm0EyEvPKT4_Pijj.has_recursion, 0
	.set _Z11rank_kernelILj64ELj2ELj4ELb1EL18RadixRankAlgorithm0EyEvPKT4_Pijj.has_indirect_call, 0
	.section	.AMDGPU.csdata,"",@progbits
; Kernel info:
; codeLenInByte = 956
; TotalNumSgprs: 14
; NumVgprs: 18
; ScratchSize: 0
; MemoryBound: 0
; FloatMode: 240
; IeeeMode: 1
; LDSByteSize: 2064 bytes/workgroup (compile time only)
; SGPRBlocks: 8
; VGPRBlocks: 7
; NumSGPRsForWavesPerEU: 65
; NumVGPRsForWavesPerEU: 29
; Occupancy: 8
; WaveLimiterHint : 0
; COMPUTE_PGM_RSRC2:SCRATCH_EN: 0
; COMPUTE_PGM_RSRC2:USER_SGPR: 6
; COMPUTE_PGM_RSRC2:TRAP_HANDLER: 0
; COMPUTE_PGM_RSRC2:TGID_X_EN: 1
; COMPUTE_PGM_RSRC2:TGID_Y_EN: 0
; COMPUTE_PGM_RSRC2:TGID_Z_EN: 0
; COMPUTE_PGM_RSRC2:TIDIG_COMP_CNT: 0
	.section	.text._Z11rank_kernelILj255ELj1ELj4ELb0EL18RadixRankAlgorithm0EhEvPKT4_Pijj,"axG",@progbits,_Z11rank_kernelILj255ELj1ELj4ELb0EL18RadixRankAlgorithm0EhEvPKT4_Pijj,comdat
	.protected	_Z11rank_kernelILj255ELj1ELj4ELb0EL18RadixRankAlgorithm0EhEvPKT4_Pijj ; -- Begin function _Z11rank_kernelILj255ELj1ELj4ELb0EL18RadixRankAlgorithm0EhEvPKT4_Pijj
	.globl	_Z11rank_kernelILj255ELj1ELj4ELb0EL18RadixRankAlgorithm0EhEvPKT4_Pijj
	.p2align	8
	.type	_Z11rank_kernelILj255ELj1ELj4ELb0EL18RadixRankAlgorithm0EhEvPKT4_Pijj,@function
_Z11rank_kernelILj255ELj1ELj4ELb0EL18RadixRankAlgorithm0EhEvPKT4_Pijj: ; @_Z11rank_kernelILj255ELj1ELj4ELb0EL18RadixRankAlgorithm0EhEvPKT4_Pijj
; %bb.0:
	s_load_dwordx4 s[0:3], s[4:5], 0x0
	s_mulk_i32 s6, 0xff
	v_lshlrev_b32_e32 v1, 2, v0
	s_movk_i32 s8, 0xff
	s_mov_b32 s7, 0
	s_waitcnt lgkmcnt(0)
	s_add_u32 s0, s0, s6
	s_addc_u32 s1, s1, 0
	global_load_ubyte v2, v0, s[0:1]
	s_movk_i32 s0, 0x3fc
	v_mov_b32_e32 v3, 0
	v_add_u32_e32 v4, 0x7f8, v1
	v_cmp_gt_u32_e32 vcc, s0, v0
	ds_write2_b32 v1, v3, v3 offset1:255
	ds_write2_b32 v4, v3, v3 offset1:255
	s_and_saveexec_b64 s[0:1], vcc
	s_cbranch_execz .LBB15_5
; %bb.1:
	s_movk_i32 s9, 0x2fd
	v_cmp_gt_u32_e32 vcc, s9, v0
	ds_write_b32 v1, v3 offset:4080
	s_and_b64 exec, exec, vcc
	s_cbranch_execz .LBB15_5
; %bb.2:
	s_movk_i32 s9, 0x1fe
	v_mov_b32_e32 v3, 0
	v_cmp_gt_u32_e32 vcc, s9, v0
	ds_write_b32 v1, v3 offset:5100
	s_and_b64 exec, exec, vcc
	s_cbranch_execz .LBB15_5
; %bb.3:
	s_movk_i32 s9, 0xff
	v_cmp_gt_u32_e32 vcc, s9, v0
	ds_write_b32 v1, v3 offset:6120
	s_and_b64 exec, exec, vcc
; %bb.4:
	v_mov_b32_e32 v3, 0
	ds_write_b32 v1, v3 offset:7140
.LBB15_5:
	s_or_b64 exec, exec, s[0:1]
	s_load_dwordx2 s[0:1], s[4:5], 0x10
	s_waitcnt lgkmcnt(0)
	s_and_b32 s1, s1, 31
	s_and_b32 s0, s0, 31
	s_add_i32 s0, s0, s1
	s_sub_i32 s4, 32, s1
	s_sub_i32 s0, 32, s0
	s_waitcnt vmcnt(0)
	v_lshlrev_b32_sdwa v2, s0, v2 dst_sel:DWORD dst_unused:UNUSED_PAD src0_sel:DWORD src1_sel:BYTE_0
	s_cmp_lg_u32 s1, 0
	v_bfe_u32 v2, v2, s4, 8
	s_cselect_b64 vcc, -1, 0
	v_cndmask_b32_e32 v2, 0, v2, vcc
	v_and_b32_e32 v3, 7, v2
	v_lshrrev_b32_e32 v2, 2, v2
	v_mad_u32_u24 v3, v3, s8, v0
	v_and_b32_e32 v2, 62, v2
	v_lshl_add_u32 v2, v3, 2, v2
	ds_read_u16 v3, v2
	s_waitcnt lgkmcnt(0)
	v_add_u16_e32 v4, 1, v3
	ds_write_b16 v2, v4
	v_mad_u32_u24 v4, v0, 28, v1
	s_waitcnt lgkmcnt(0)
	s_barrier
	ds_read_b128 v[5:8], v4
	ds_read_b128 v[9:12], v4 offset:16
	s_waitcnt lgkmcnt(1)
	v_add_u32_e32 v5, v6, v5
	v_add3_u32 v5, v5, v7, v8
	s_waitcnt lgkmcnt(0)
	v_add3_u32 v5, v5, v9, v10
	v_add3_u32 v6, v5, v11, v12
	v_mbcnt_lo_u32_b32 v5, -1, 0
	v_mbcnt_hi_u32_b32 v5, -1, v5
	v_and_b32_e32 v7, 15, v5
	v_mov_b32_dpp v8, v6 row_shr:1 row_mask:0xf bank_mask:0xf
	v_cmp_ne_u32_e32 vcc, 0, v7
	v_cndmask_b32_e32 v8, 0, v8, vcc
	v_add_u32_e32 v6, v8, v6
	v_cmp_lt_u32_e32 vcc, 1, v7
	s_nop 0
	v_mov_b32_dpp v8, v6 row_shr:2 row_mask:0xf bank_mask:0xf
	v_cndmask_b32_e32 v8, 0, v8, vcc
	v_add_u32_e32 v6, v6, v8
	v_cmp_lt_u32_e32 vcc, 3, v7
	s_nop 0
	v_mov_b32_dpp v8, v6 row_shr:4 row_mask:0xf bank_mask:0xf
	;; [unrolled: 5-line block ×3, first 2 shown]
	v_cndmask_b32_e32 v7, 0, v8, vcc
	v_add_u32_e32 v6, v6, v7
	v_bfe_i32 v8, v5, 4, 1
	v_cmp_lt_u32_e32 vcc, 31, v5
	v_mov_b32_dpp v7, v6 row_bcast:15 row_mask:0xf bank_mask:0xf
	v_and_b32_e32 v7, v8, v7
	v_add_u32_e32 v6, v6, v7
	v_and_b32_e32 v8, 0xc0, v0
	v_min_u32_e32 v8, 0xbf, v8
	v_mov_b32_dpp v7, v6 row_bcast:31 row_mask:0xf bank_mask:0xf
	v_cndmask_b32_e32 v7, 0, v7, vcc
	v_add_u32_e32 v6, v6, v7
	v_lshrrev_b32_e32 v7, 6, v0
	v_add_u32_e32 v8, 63, v8
	v_cmp_eq_u32_e32 vcc, v0, v8
	v_lshlrev_b32_e32 v7, 2, v7
	s_and_saveexec_b64 s[0:1], vcc
; %bb.6:
	ds_write_b32 v7, v6 offset:8160
; %bb.7:
	s_or_b64 exec, exec, s[0:1]
	v_cmp_gt_u32_e32 vcc, 4, v0
	s_waitcnt lgkmcnt(0)
	s_barrier
	s_and_saveexec_b64 s[0:1], vcc
	s_cbranch_execz .LBB15_9
; %bb.8:
	s_movk_i32 s4, 0xffe4
	v_mad_i32_i24 v8, v0, s4, v4
	ds_read_b32 v9, v8 offset:8160
	v_and_b32_e32 v10, 3, v5
	v_cmp_ne_u32_e32 vcc, 0, v10
	s_waitcnt lgkmcnt(0)
	v_mov_b32_dpp v11, v9 row_shr:1 row_mask:0xf bank_mask:0xf
	v_cndmask_b32_e32 v11, 0, v11, vcc
	v_add_u32_e32 v9, v11, v9
	v_cmp_lt_u32_e32 vcc, 1, v10
	s_nop 0
	v_mov_b32_dpp v11, v9 row_shr:2 row_mask:0xf bank_mask:0xf
	v_cndmask_b32_e32 v10, 0, v11, vcc
	v_add_u32_e32 v9, v9, v10
	ds_write_b32 v8, v9 offset:8160
.LBB15_9:
	s_or_b64 exec, exec, s[0:1]
	v_cmp_lt_u32_e32 vcc, 63, v0
	v_mov_b32_e32 v8, 0
	v_mov_b32_e32 v0, 0
	s_waitcnt lgkmcnt(0)
	s_barrier
	s_and_saveexec_b64 s[0:1], vcc
; %bb.10:
	ds_read_b32 v0, v7 offset:8156
; %bb.11:
	s_or_b64 exec, exec, s[0:1]
	v_subrev_co_u32_e32 v7, vcc, 1, v5
	v_and_b32_e32 v9, 64, v5
	v_cmp_lt_i32_e64 s[0:1], v7, v9
	v_cndmask_b32_e64 v5, v7, v5, s[0:1]
	s_waitcnt lgkmcnt(0)
	v_add_u32_e32 v6, v0, v6
	v_lshlrev_b32_e32 v5, 2, v5
	ds_bpermute_b32 v9, v5, v6
	ds_read_b32 v10, v8 offset:8172
	ds_read_b128 v[5:8], v4
	ds_read_b96 v[13:15], v4 offset:16
	s_lshl_b64 s[0:1], s[6:7], 2
	s_add_u32 s0, s2, s0
	s_waitcnt lgkmcnt(3)
	v_cndmask_b32_e32 v0, v9, v0, vcc
	s_waitcnt lgkmcnt(2)
	v_lshl_add_u32 v9, v10, 16, v0
	s_waitcnt lgkmcnt(1)
	v_add_u32_e32 v10, v9, v5
	v_add_u32_e32 v11, v6, v10
	;; [unrolled: 1-line block ×4, first 2 shown]
	s_waitcnt lgkmcnt(0)
	v_add_u32_e32 v6, v13, v5
	v_add_u32_e32 v7, v14, v6
	v_add_u32_e32 v8, v15, v7
	ds_write_b128 v4, v[9:12]
	ds_write_b128 v4, v[5:8] offset:16
	s_waitcnt lgkmcnt(0)
	s_barrier
	ds_read_u16 v0, v2
	s_addc_u32 s1, s3, s1
	s_waitcnt lgkmcnt(0)
	v_add_u32_sdwa v0, v0, v3 dst_sel:DWORD dst_unused:UNUSED_PAD src0_sel:DWORD src1_sel:WORD_0
	global_store_dword v1, v0, s[0:1]
	s_endpgm
	.section	.rodata,"a",@progbits
	.p2align	6, 0x0
	.amdhsa_kernel _Z11rank_kernelILj255ELj1ELj4ELb0EL18RadixRankAlgorithm0EhEvPKT4_Pijj
		.amdhsa_group_segment_fixed_size 8176
		.amdhsa_private_segment_fixed_size 0
		.amdhsa_kernarg_size 24
		.amdhsa_user_sgpr_count 6
		.amdhsa_user_sgpr_private_segment_buffer 1
		.amdhsa_user_sgpr_dispatch_ptr 0
		.amdhsa_user_sgpr_queue_ptr 0
		.amdhsa_user_sgpr_kernarg_segment_ptr 1
		.amdhsa_user_sgpr_dispatch_id 0
		.amdhsa_user_sgpr_flat_scratch_init 0
		.amdhsa_user_sgpr_private_segment_size 0
		.amdhsa_uses_dynamic_stack 0
		.amdhsa_system_sgpr_private_segment_wavefront_offset 0
		.amdhsa_system_sgpr_workgroup_id_x 1
		.amdhsa_system_sgpr_workgroup_id_y 0
		.amdhsa_system_sgpr_workgroup_id_z 0
		.amdhsa_system_sgpr_workgroup_info 0
		.amdhsa_system_vgpr_workitem_id 0
		.amdhsa_next_free_vgpr 29
		.amdhsa_next_free_sgpr 61
		.amdhsa_reserve_vcc 1
		.amdhsa_reserve_flat_scratch 0
		.amdhsa_float_round_mode_32 0
		.amdhsa_float_round_mode_16_64 0
		.amdhsa_float_denorm_mode_32 3
		.amdhsa_float_denorm_mode_16_64 3
		.amdhsa_dx10_clamp 1
		.amdhsa_ieee_mode 1
		.amdhsa_fp16_overflow 0
		.amdhsa_exception_fp_ieee_invalid_op 0
		.amdhsa_exception_fp_denorm_src 0
		.amdhsa_exception_fp_ieee_div_zero 0
		.amdhsa_exception_fp_ieee_overflow 0
		.amdhsa_exception_fp_ieee_underflow 0
		.amdhsa_exception_fp_ieee_inexact 0
		.amdhsa_exception_int_div_zero 0
	.end_amdhsa_kernel
	.section	.text._Z11rank_kernelILj255ELj1ELj4ELb0EL18RadixRankAlgorithm0EhEvPKT4_Pijj,"axG",@progbits,_Z11rank_kernelILj255ELj1ELj4ELb0EL18RadixRankAlgorithm0EhEvPKT4_Pijj,comdat
.Lfunc_end15:
	.size	_Z11rank_kernelILj255ELj1ELj4ELb0EL18RadixRankAlgorithm0EhEvPKT4_Pijj, .Lfunc_end15-_Z11rank_kernelILj255ELj1ELj4ELb0EL18RadixRankAlgorithm0EhEvPKT4_Pijj
                                        ; -- End function
	.set _Z11rank_kernelILj255ELj1ELj4ELb0EL18RadixRankAlgorithm0EhEvPKT4_Pijj.num_vgpr, 16
	.set _Z11rank_kernelILj255ELj1ELj4ELb0EL18RadixRankAlgorithm0EhEvPKT4_Pijj.num_agpr, 0
	.set _Z11rank_kernelILj255ELj1ELj4ELb0EL18RadixRankAlgorithm0EhEvPKT4_Pijj.numbered_sgpr, 10
	.set _Z11rank_kernelILj255ELj1ELj4ELb0EL18RadixRankAlgorithm0EhEvPKT4_Pijj.num_named_barrier, 0
	.set _Z11rank_kernelILj255ELj1ELj4ELb0EL18RadixRankAlgorithm0EhEvPKT4_Pijj.private_seg_size, 0
	.set _Z11rank_kernelILj255ELj1ELj4ELb0EL18RadixRankAlgorithm0EhEvPKT4_Pijj.uses_vcc, 1
	.set _Z11rank_kernelILj255ELj1ELj4ELb0EL18RadixRankAlgorithm0EhEvPKT4_Pijj.uses_flat_scratch, 0
	.set _Z11rank_kernelILj255ELj1ELj4ELb0EL18RadixRankAlgorithm0EhEvPKT4_Pijj.has_dyn_sized_stack, 0
	.set _Z11rank_kernelILj255ELj1ELj4ELb0EL18RadixRankAlgorithm0EhEvPKT4_Pijj.has_recursion, 0
	.set _Z11rank_kernelILj255ELj1ELj4ELb0EL18RadixRankAlgorithm0EhEvPKT4_Pijj.has_indirect_call, 0
	.section	.AMDGPU.csdata,"",@progbits
; Kernel info:
; codeLenInByte = 896
; TotalNumSgprs: 14
; NumVgprs: 16
; ScratchSize: 0
; MemoryBound: 0
; FloatMode: 240
; IeeeMode: 1
; LDSByteSize: 8176 bytes/workgroup (compile time only)
; SGPRBlocks: 8
; VGPRBlocks: 7
; NumSGPRsForWavesPerEU: 65
; NumVGPRsForWavesPerEU: 29
; Occupancy: 8
; WaveLimiterHint : 0
; COMPUTE_PGM_RSRC2:SCRATCH_EN: 0
; COMPUTE_PGM_RSRC2:USER_SGPR: 6
; COMPUTE_PGM_RSRC2:TRAP_HANDLER: 0
; COMPUTE_PGM_RSRC2:TGID_X_EN: 1
; COMPUTE_PGM_RSRC2:TGID_Y_EN: 0
; COMPUTE_PGM_RSRC2:TGID_Z_EN: 0
; COMPUTE_PGM_RSRC2:TIDIG_COMP_CNT: 0
	.section	.text._Z11rank_kernelILj162ELj1ELj4ELb0EL18RadixRankAlgorithm0EjEvPKT4_Pijj,"axG",@progbits,_Z11rank_kernelILj162ELj1ELj4ELb0EL18RadixRankAlgorithm0EjEvPKT4_Pijj,comdat
	.protected	_Z11rank_kernelILj162ELj1ELj4ELb0EL18RadixRankAlgorithm0EjEvPKT4_Pijj ; -- Begin function _Z11rank_kernelILj162ELj1ELj4ELb0EL18RadixRankAlgorithm0EjEvPKT4_Pijj
	.globl	_Z11rank_kernelILj162ELj1ELj4ELb0EL18RadixRankAlgorithm0EjEvPKT4_Pijj
	.p2align	8
	.type	_Z11rank_kernelILj162ELj1ELj4ELb0EL18RadixRankAlgorithm0EjEvPKT4_Pijj,@function
_Z11rank_kernelILj162ELj1ELj4ELb0EL18RadixRankAlgorithm0EjEvPKT4_Pijj: ; @_Z11rank_kernelILj162ELj1ELj4ELb0EL18RadixRankAlgorithm0EjEvPKT4_Pijj
; %bb.0:
	s_load_dwordx4 s[0:3], s[4:5], 0x0
	s_mulk_i32 s6, 0xa2
	s_mov_b32 s7, 0
	s_lshl_b64 s[6:7], s[6:7], 2
	v_lshlrev_b32_e32 v1, 2, v0
	s_waitcnt lgkmcnt(0)
	s_add_u32 s0, s0, s6
	s_addc_u32 s1, s1, s7
	global_load_dword v2, v1, s[0:1]
	s_movk_i32 s0, 0x3cc
	s_movk_i32 s8, 0xa2
	v_mov_b32_e32 v3, 0
	v_cmp_gt_u32_e32 vcc, s0, v0
	ds_write2_b32 v1, v3, v3 offset1:162
	s_and_saveexec_b64 s[0:1], vcc
	s_cbranch_execz .LBB16_7
; %bb.1:
	s_movk_i32 s9, 0x32a
	v_cmp_gt_u32_e32 vcc, s9, v0
	ds_write_b32 v1, v3 offset:1296
	s_and_b64 exec, exec, vcc
	s_cbranch_execz .LBB16_7
; %bb.2:
	s_movk_i32 s9, 0x288
	v_mov_b32_e32 v3, 0
	v_cmp_gt_u32_e32 vcc, s9, v0
	ds_write_b32 v1, v3 offset:1944
	s_and_b64 exec, exec, vcc
	s_cbranch_execz .LBB16_7
; %bb.3:
	s_movk_i32 s9, 0x1e6
	v_cmp_gt_u32_e32 vcc, s9, v0
	ds_write_b32 v1, v3 offset:2592
	s_and_b64 exec, exec, vcc
	s_cbranch_execz .LBB16_7
; %bb.4:
	s_movk_i32 s9, 0x144
	v_mov_b32_e32 v3, 0
	v_cmp_gt_u32_e32 vcc, s9, v0
	ds_write_b32 v1, v3 offset:3240
	s_and_b64 exec, exec, vcc
	s_cbranch_execz .LBB16_7
; %bb.5:
	s_movk_i32 s9, 0xa2
	v_cmp_gt_u32_e32 vcc, s9, v0
	ds_write_b32 v1, v3 offset:3888
	s_and_b64 exec, exec, vcc
; %bb.6:
	v_mov_b32_e32 v3, 0
	ds_write_b32 v1, v3 offset:4536
.LBB16_7:
	s_or_b64 exec, exec, s[0:1]
	s_load_dwordx2 s[0:1], s[4:5], 0x10
	s_waitcnt lgkmcnt(0)
	s_and_b32 s1, s1, 31
	s_and_b32 s0, s0, 31
	s_add_i32 s0, s0, s1
	s_sub_i32 s4, 32, s1
	s_sub_i32 s0, 32, s0
	s_waitcnt vmcnt(0)
	v_lshlrev_b32_e32 v2, s0, v2
	s_cmp_lg_u32 s1, 0
	v_lshrrev_b32_e32 v2, s4, v2
	s_cselect_b64 vcc, -1, 0
	v_cndmask_b32_e32 v2, 0, v2, vcc
	v_and_b32_e32 v3, 7, v2
	v_lshrrev_b32_e32 v2, 2, v2
	v_mad_u32_u24 v3, v3, s8, v0
	v_and_b32_e32 v2, 0x3ffffffe, v2
	v_lshl_add_u32 v2, v3, 2, v2
	ds_read_u16 v3, v2
	s_waitcnt lgkmcnt(0)
	v_add_u16_e32 v4, 1, v3
	ds_write_b16 v2, v4
	v_mad_u32_u24 v4, v0, 28, v1
	s_waitcnt lgkmcnt(0)
	s_barrier
	ds_read_b128 v[5:8], v4
	ds_read_b128 v[9:12], v4 offset:16
	s_waitcnt lgkmcnt(1)
	v_add_u32_e32 v5, v6, v5
	v_add3_u32 v5, v5, v7, v8
	s_waitcnt lgkmcnt(0)
	v_add3_u32 v5, v5, v9, v10
	v_add3_u32 v6, v5, v11, v12
	v_mbcnt_lo_u32_b32 v5, -1, 0
	v_mbcnt_hi_u32_b32 v5, -1, v5
	v_and_b32_e32 v7, 15, v5
	v_mov_b32_dpp v8, v6 row_shr:1 row_mask:0xf bank_mask:0xf
	v_cmp_ne_u32_e32 vcc, 0, v7
	v_cndmask_b32_e32 v8, 0, v8, vcc
	v_add_u32_e32 v6, v8, v6
	v_cmp_lt_u32_e32 vcc, 1, v7
	s_nop 0
	v_mov_b32_dpp v8, v6 row_shr:2 row_mask:0xf bank_mask:0xf
	v_cndmask_b32_e32 v8, 0, v8, vcc
	v_add_u32_e32 v6, v6, v8
	v_cmp_lt_u32_e32 vcc, 3, v7
	s_nop 0
	v_mov_b32_dpp v8, v6 row_shr:4 row_mask:0xf bank_mask:0xf
	;; [unrolled: 5-line block ×3, first 2 shown]
	v_cndmask_b32_e32 v7, 0, v8, vcc
	v_add_u32_e32 v6, v6, v7
	v_bfe_i32 v8, v5, 4, 1
	v_cmp_lt_u32_e32 vcc, 31, v5
	v_mov_b32_dpp v7, v6 row_bcast:15 row_mask:0xf bank_mask:0xf
	v_and_b32_e32 v7, v8, v7
	v_add_u32_e32 v6, v6, v7
	v_and_b32_e32 v8, 0xc0, v0
	v_min_u32_e32 v8, 0x62, v8
	v_mov_b32_dpp v7, v6 row_bcast:31 row_mask:0xf bank_mask:0xf
	v_cndmask_b32_e32 v7, 0, v7, vcc
	v_add_u32_e32 v6, v6, v7
	v_lshrrev_b32_e32 v7, 6, v0
	v_add_u32_e32 v8, 63, v8
	v_cmp_eq_u32_e32 vcc, v0, v8
	v_lshlrev_b32_e32 v7, 2, v7
	s_and_saveexec_b64 s[0:1], vcc
; %bb.8:
	ds_write_b32 v7, v6 offset:5184
; %bb.9:
	s_or_b64 exec, exec, s[0:1]
	v_cmp_gt_u32_e32 vcc, 3, v0
	s_waitcnt lgkmcnt(0)
	s_barrier
	s_and_saveexec_b64 s[0:1], vcc
	s_cbranch_execz .LBB16_11
; %bb.10:
	s_movk_i32 s4, 0xffe4
	v_mad_i32_i24 v8, v0, s4, v4
	ds_read_b32 v9, v8 offset:5184
	v_and_b32_e32 v10, 3, v5
	v_cmp_ne_u32_e32 vcc, 0, v10
	s_waitcnt lgkmcnt(0)
	v_mov_b32_dpp v11, v9 row_shr:1 row_mask:0xf bank_mask:0xf
	v_cndmask_b32_e32 v11, 0, v11, vcc
	v_add_u32_e32 v9, v11, v9
	v_cmp_lt_u32_e32 vcc, 1, v10
	s_nop 0
	v_mov_b32_dpp v11, v9 row_shr:2 row_mask:0xf bank_mask:0xf
	v_cndmask_b32_e32 v10, 0, v11, vcc
	v_add_u32_e32 v9, v9, v10
	ds_write_b32 v8, v9 offset:5184
.LBB16_11:
	s_or_b64 exec, exec, s[0:1]
	v_cmp_lt_u32_e32 vcc, 63, v0
	v_mov_b32_e32 v8, 0
	v_mov_b32_e32 v0, 0
	s_waitcnt lgkmcnt(0)
	s_barrier
	s_and_saveexec_b64 s[0:1], vcc
; %bb.12:
	ds_read_b32 v0, v7 offset:5180
; %bb.13:
	s_or_b64 exec, exec, s[0:1]
	v_subrev_co_u32_e32 v7, vcc, 1, v5
	v_and_b32_e32 v9, 64, v5
	v_cmp_lt_i32_e64 s[0:1], v7, v9
	v_cndmask_b32_e64 v5, v7, v5, s[0:1]
	s_waitcnt lgkmcnt(0)
	v_add_u32_e32 v6, v0, v6
	v_lshlrev_b32_e32 v5, 2, v5
	ds_bpermute_b32 v9, v5, v6
	ds_read_b32 v10, v8 offset:5192
	ds_read_b128 v[5:8], v4
	ds_read_b96 v[13:15], v4 offset:16
	s_add_u32 s0, s2, s6
	s_addc_u32 s1, s3, s7
	s_waitcnt lgkmcnt(3)
	v_cndmask_b32_e32 v0, v9, v0, vcc
	s_waitcnt lgkmcnt(2)
	v_lshl_add_u32 v9, v10, 16, v0
	s_waitcnt lgkmcnt(1)
	v_add_u32_e32 v10, v9, v5
	v_add_u32_e32 v11, v6, v10
	;; [unrolled: 1-line block ×4, first 2 shown]
	s_waitcnt lgkmcnt(0)
	v_add_u32_e32 v6, v13, v5
	v_add_u32_e32 v7, v14, v6
	;; [unrolled: 1-line block ×3, first 2 shown]
	ds_write_b128 v4, v[9:12]
	ds_write_b128 v4, v[5:8] offset:16
	s_waitcnt lgkmcnt(0)
	s_barrier
	ds_read_u16 v0, v2
	s_waitcnt lgkmcnt(0)
	v_add_u32_sdwa v0, v0, v3 dst_sel:DWORD dst_unused:UNUSED_PAD src0_sel:DWORD src1_sel:WORD_0
	global_store_dword v1, v0, s[0:1]
	s_endpgm
	.section	.rodata,"a",@progbits
	.p2align	6, 0x0
	.amdhsa_kernel _Z11rank_kernelILj162ELj1ELj4ELb0EL18RadixRankAlgorithm0EjEvPKT4_Pijj
		.amdhsa_group_segment_fixed_size 5200
		.amdhsa_private_segment_fixed_size 0
		.amdhsa_kernarg_size 24
		.amdhsa_user_sgpr_count 6
		.amdhsa_user_sgpr_private_segment_buffer 1
		.amdhsa_user_sgpr_dispatch_ptr 0
		.amdhsa_user_sgpr_queue_ptr 0
		.amdhsa_user_sgpr_kernarg_segment_ptr 1
		.amdhsa_user_sgpr_dispatch_id 0
		.amdhsa_user_sgpr_flat_scratch_init 0
		.amdhsa_user_sgpr_private_segment_size 0
		.amdhsa_uses_dynamic_stack 0
		.amdhsa_system_sgpr_private_segment_wavefront_offset 0
		.amdhsa_system_sgpr_workgroup_id_x 1
		.amdhsa_system_sgpr_workgroup_id_y 0
		.amdhsa_system_sgpr_workgroup_id_z 0
		.amdhsa_system_sgpr_workgroup_info 0
		.amdhsa_system_vgpr_workitem_id 0
		.amdhsa_next_free_vgpr 25
		.amdhsa_next_free_sgpr 61
		.amdhsa_reserve_vcc 1
		.amdhsa_reserve_flat_scratch 0
		.amdhsa_float_round_mode_32 0
		.amdhsa_float_round_mode_16_64 0
		.amdhsa_float_denorm_mode_32 3
		.amdhsa_float_denorm_mode_16_64 3
		.amdhsa_dx10_clamp 1
		.amdhsa_ieee_mode 1
		.amdhsa_fp16_overflow 0
		.amdhsa_exception_fp_ieee_invalid_op 0
		.amdhsa_exception_fp_denorm_src 0
		.amdhsa_exception_fp_ieee_div_zero 0
		.amdhsa_exception_fp_ieee_overflow 0
		.amdhsa_exception_fp_ieee_underflow 0
		.amdhsa_exception_fp_ieee_inexact 0
		.amdhsa_exception_int_div_zero 0
	.end_amdhsa_kernel
	.section	.text._Z11rank_kernelILj162ELj1ELj4ELb0EL18RadixRankAlgorithm0EjEvPKT4_Pijj,"axG",@progbits,_Z11rank_kernelILj162ELj1ELj4ELb0EL18RadixRankAlgorithm0EjEvPKT4_Pijj,comdat
.Lfunc_end16:
	.size	_Z11rank_kernelILj162ELj1ELj4ELb0EL18RadixRankAlgorithm0EjEvPKT4_Pijj, .Lfunc_end16-_Z11rank_kernelILj162ELj1ELj4ELb0EL18RadixRankAlgorithm0EjEvPKT4_Pijj
                                        ; -- End function
	.set _Z11rank_kernelILj162ELj1ELj4ELb0EL18RadixRankAlgorithm0EjEvPKT4_Pijj.num_vgpr, 16
	.set _Z11rank_kernelILj162ELj1ELj4ELb0EL18RadixRankAlgorithm0EjEvPKT4_Pijj.num_agpr, 0
	.set _Z11rank_kernelILj162ELj1ELj4ELb0EL18RadixRankAlgorithm0EjEvPKT4_Pijj.numbered_sgpr, 10
	.set _Z11rank_kernelILj162ELj1ELj4ELb0EL18RadixRankAlgorithm0EjEvPKT4_Pijj.num_named_barrier, 0
	.set _Z11rank_kernelILj162ELj1ELj4ELb0EL18RadixRankAlgorithm0EjEvPKT4_Pijj.private_seg_size, 0
	.set _Z11rank_kernelILj162ELj1ELj4ELb0EL18RadixRankAlgorithm0EjEvPKT4_Pijj.uses_vcc, 1
	.set _Z11rank_kernelILj162ELj1ELj4ELb0EL18RadixRankAlgorithm0EjEvPKT4_Pijj.uses_flat_scratch, 0
	.set _Z11rank_kernelILj162ELj1ELj4ELb0EL18RadixRankAlgorithm0EjEvPKT4_Pijj.has_dyn_sized_stack, 0
	.set _Z11rank_kernelILj162ELj1ELj4ELb0EL18RadixRankAlgorithm0EjEvPKT4_Pijj.has_recursion, 0
	.set _Z11rank_kernelILj162ELj1ELj4ELb0EL18RadixRankAlgorithm0EjEvPKT4_Pijj.has_indirect_call, 0
	.section	.AMDGPU.csdata,"",@progbits
; Kernel info:
; codeLenInByte = 928
; TotalNumSgprs: 14
; NumVgprs: 16
; ScratchSize: 0
; MemoryBound: 0
; FloatMode: 240
; IeeeMode: 1
; LDSByteSize: 5200 bytes/workgroup (compile time only)
; SGPRBlocks: 8
; VGPRBlocks: 6
; NumSGPRsForWavesPerEU: 65
; NumVGPRsForWavesPerEU: 25
; Occupancy: 9
; WaveLimiterHint : 0
; COMPUTE_PGM_RSRC2:SCRATCH_EN: 0
; COMPUTE_PGM_RSRC2:USER_SGPR: 6
; COMPUTE_PGM_RSRC2:TRAP_HANDLER: 0
; COMPUTE_PGM_RSRC2:TGID_X_EN: 1
; COMPUTE_PGM_RSRC2:TGID_Y_EN: 0
; COMPUTE_PGM_RSRC2:TGID_Z_EN: 0
; COMPUTE_PGM_RSRC2:TIDIG_COMP_CNT: 0
	.section	.text._Z11rank_kernelILj510ELj1ELj4ELb1EL18RadixRankAlgorithm0ExEvPKT4_Pijj,"axG",@progbits,_Z11rank_kernelILj510ELj1ELj4ELb1EL18RadixRankAlgorithm0ExEvPKT4_Pijj,comdat
	.protected	_Z11rank_kernelILj510ELj1ELj4ELb1EL18RadixRankAlgorithm0ExEvPKT4_Pijj ; -- Begin function _Z11rank_kernelILj510ELj1ELj4ELb1EL18RadixRankAlgorithm0ExEvPKT4_Pijj
	.globl	_Z11rank_kernelILj510ELj1ELj4ELb1EL18RadixRankAlgorithm0ExEvPKT4_Pijj
	.p2align	8
	.type	_Z11rank_kernelILj510ELj1ELj4ELb1EL18RadixRankAlgorithm0ExEvPKT4_Pijj,@function
_Z11rank_kernelILj510ELj1ELj4ELb1EL18RadixRankAlgorithm0ExEvPKT4_Pijj: ; @_Z11rank_kernelILj510ELj1ELj4ELb1EL18RadixRankAlgorithm0ExEvPKT4_Pijj
; %bb.0:
	s_load_dwordx4 s[0:3], s[4:5], 0x0
	s_mulk_i32 s6, 0x1fe
	s_mov_b32 s7, 0
	s_lshl_b64 s[8:9], s[6:7], 3
	v_lshlrev_b32_e32 v1, 3, v0
	s_waitcnt lgkmcnt(0)
	s_add_u32 s0, s0, s8
	s_addc_u32 s1, s1, s9
	global_load_dwordx2 v[1:2], v1, s[0:1]
	s_movk_i32 s0, 0x3fc
	s_movk_i32 s8, 0x1fe
	v_mov_b32_e32 v4, 0
	v_lshlrev_b32_e32 v3, 2, v0
	v_cmp_gt_u32_e32 vcc, s0, v0
	ds_write_b32 v3, v4
	ds_write_b32 v3, v4 offset:2040
	ds_write_b32 v3, v4 offset:4080
	;; [unrolled: 1-line block ×5, first 2 shown]
	s_and_saveexec_b64 s[0:1], vcc
	s_cbranch_execz .LBB17_3
; %bb.1:
	v_cmp_gt_u32_e32 vcc, s8, v0
	ds_write_b32 v3, v4 offset:12240
	s_and_b64 exec, exec, vcc
; %bb.2:
	v_mov_b32_e32 v4, 0
	ds_write_b32 v3, v4 offset:14280
.LBB17_3:
	s_or_b64 exec, exec, s[0:1]
	s_load_dwordx2 s[0:1], s[4:5], 0x10
	s_waitcnt lgkmcnt(0)
	s_and_b32 s1, s1, 63
	s_cmp_lg_u32 s1, 0
	s_cbranch_scc0 .LBB17_5
; %bb.4:
	s_and_b32 s0, s0, 63
	s_add_i32 s0, s0, s1
	s_waitcnt vmcnt(0)
	v_xor_b32_e32 v2, 0x80000000, v2
	s_sub_i32 s0, 64, s0
	v_lshlrev_b64 v[1:2], s0, v[1:2]
	s_sub_i32 s0, 64, s1
	v_lshrrev_b64 v[1:2], s0, v[1:2]
	v_xor_b32_e32 v1, 15, v1
	s_branch .LBB17_6
.LBB17_5:
	s_waitcnt vmcnt(0)
	v_mov_b32_e32 v1, 15
.LBB17_6:
	v_and_b32_e32 v2, 7, v1
	s_movk_i32 s0, 0x1fe
	v_lshrrev_b32_e32 v1, 2, v1
	v_mad_u32_u24 v2, v2, s0, v0
	v_and_b32_e32 v1, 0x3ffffffe, v1
	v_lshl_add_u32 v1, v2, 2, v1
	ds_read_u16 v2, v1
	s_waitcnt lgkmcnt(0)
	v_add_u16_e32 v4, 1, v2
	ds_write_b16 v1, v4
	v_mad_u32_u24 v4, v0, 28, v3
	s_waitcnt lgkmcnt(0)
	s_barrier
	ds_read_b128 v[5:8], v4
	ds_read_b128 v[9:12], v4 offset:16
	s_waitcnt lgkmcnt(1)
	v_add_u32_e32 v5, v6, v5
	v_add3_u32 v5, v5, v7, v8
	s_waitcnt lgkmcnt(0)
	v_add3_u32 v5, v5, v9, v10
	v_add3_u32 v6, v5, v11, v12
	v_mbcnt_lo_u32_b32 v5, -1, 0
	v_mbcnt_hi_u32_b32 v5, -1, v5
	v_and_b32_e32 v7, 15, v5
	v_mov_b32_dpp v8, v6 row_shr:1 row_mask:0xf bank_mask:0xf
	v_cmp_ne_u32_e32 vcc, 0, v7
	v_cndmask_b32_e32 v8, 0, v8, vcc
	v_add_u32_e32 v6, v8, v6
	v_cmp_lt_u32_e32 vcc, 1, v7
	s_nop 0
	v_mov_b32_dpp v8, v6 row_shr:2 row_mask:0xf bank_mask:0xf
	v_cndmask_b32_e32 v8, 0, v8, vcc
	v_add_u32_e32 v6, v6, v8
	v_cmp_lt_u32_e32 vcc, 3, v7
	s_nop 0
	v_mov_b32_dpp v8, v6 row_shr:4 row_mask:0xf bank_mask:0xf
	;; [unrolled: 5-line block ×3, first 2 shown]
	v_cndmask_b32_e32 v7, 0, v8, vcc
	v_add_u32_e32 v6, v6, v7
	v_bfe_i32 v8, v5, 4, 1
	v_cmp_lt_u32_e32 vcc, 31, v5
	v_mov_b32_dpp v7, v6 row_bcast:15 row_mask:0xf bank_mask:0xf
	v_and_b32_e32 v7, v8, v7
	v_add_u32_e32 v6, v6, v7
	v_and_b32_e32 v8, 0x1c0, v0
	v_min_u32_e32 v8, 0x1be, v8
	v_mov_b32_dpp v7, v6 row_bcast:31 row_mask:0xf bank_mask:0xf
	v_cndmask_b32_e32 v7, 0, v7, vcc
	v_add_u32_e32 v6, v6, v7
	v_lshrrev_b32_e32 v7, 6, v0
	v_add_u32_e32 v8, 63, v8
	v_cmp_eq_u32_e32 vcc, v0, v8
	v_lshlrev_b32_e32 v7, 2, v7
	s_and_saveexec_b64 s[0:1], vcc
	s_xor_b64 s[0:1], exec, s[0:1]
; %bb.7:
	ds_write_b32 v7, v6 offset:16320
; %bb.8:
	s_or_b64 exec, exec, s[0:1]
	v_cmp_gt_u32_e32 vcc, 8, v0
	s_waitcnt lgkmcnt(0)
	s_barrier
	s_and_saveexec_b64 s[0:1], vcc
	s_cbranch_execz .LBB17_10
; %bb.9:
	s_movk_i32 s4, 0xffe4
	v_mad_i32_i24 v8, v0, s4, v4
	ds_read_b32 v9, v8 offset:16320
	v_and_b32_e32 v10, 7, v5
	v_cmp_ne_u32_e32 vcc, 0, v10
	s_waitcnt lgkmcnt(0)
	v_mov_b32_dpp v11, v9 row_shr:1 row_mask:0xf bank_mask:0xf
	v_cndmask_b32_e32 v11, 0, v11, vcc
	v_add_u32_e32 v9, v11, v9
	v_cmp_lt_u32_e32 vcc, 1, v10
	s_nop 0
	v_mov_b32_dpp v11, v9 row_shr:2 row_mask:0xf bank_mask:0xf
	v_cndmask_b32_e32 v11, 0, v11, vcc
	v_add_u32_e32 v9, v9, v11
	v_cmp_lt_u32_e32 vcc, 3, v10
	s_nop 0
	v_mov_b32_dpp v11, v9 row_shr:4 row_mask:0xf bank_mask:0xf
	v_cndmask_b32_e32 v10, 0, v11, vcc
	v_add_u32_e32 v9, v9, v10
	ds_write_b32 v8, v9 offset:16320
.LBB17_10:
	s_or_b64 exec, exec, s[0:1]
	v_cmp_lt_u32_e32 vcc, 63, v0
	v_mov_b32_e32 v8, 0
	v_mov_b32_e32 v0, 0
	s_waitcnt lgkmcnt(0)
	s_barrier
	s_and_saveexec_b64 s[0:1], vcc
; %bb.11:
	ds_read_b32 v0, v7 offset:16316
; %bb.12:
	s_or_b64 exec, exec, s[0:1]
	v_subrev_co_u32_e32 v7, vcc, 1, v5
	v_and_b32_e32 v9, 64, v5
	v_cmp_lt_i32_e64 s[0:1], v7, v9
	v_cndmask_b32_e64 v5, v7, v5, s[0:1]
	s_waitcnt lgkmcnt(0)
	v_add_u32_e32 v6, v0, v6
	v_lshlrev_b32_e32 v5, 2, v5
	ds_bpermute_b32 v9, v5, v6
	ds_read_b32 v10, v8 offset:16348
	ds_read_b128 v[5:8], v4
	ds_read_b96 v[13:15], v4 offset:16
	s_lshl_b64 s[0:1], s[6:7], 2
	s_add_u32 s0, s2, s0
	s_waitcnt lgkmcnt(3)
	v_cndmask_b32_e32 v0, v9, v0, vcc
	s_waitcnt lgkmcnt(2)
	v_lshl_add_u32 v9, v10, 16, v0
	s_waitcnt lgkmcnt(1)
	v_add_u32_e32 v10, v9, v5
	v_add_u32_e32 v11, v6, v10
	;; [unrolled: 1-line block ×4, first 2 shown]
	s_waitcnt lgkmcnt(0)
	v_add_u32_e32 v6, v13, v5
	v_add_u32_e32 v7, v14, v6
	;; [unrolled: 1-line block ×3, first 2 shown]
	ds_write_b128 v4, v[9:12]
	ds_write_b128 v4, v[5:8] offset:16
	s_waitcnt lgkmcnt(0)
	s_barrier
	ds_read_u16 v0, v1
	s_addc_u32 s1, s3, s1
	s_waitcnt lgkmcnt(0)
	v_add_u32_sdwa v0, v0, v2 dst_sel:DWORD dst_unused:UNUSED_PAD src0_sel:DWORD src1_sel:WORD_0
	global_store_dword v3, v0, s[0:1]
	s_endpgm
	.section	.rodata,"a",@progbits
	.p2align	6, 0x0
	.amdhsa_kernel _Z11rank_kernelILj510ELj1ELj4ELb1EL18RadixRankAlgorithm0ExEvPKT4_Pijj
		.amdhsa_group_segment_fixed_size 16352
		.amdhsa_private_segment_fixed_size 0
		.amdhsa_kernarg_size 24
		.amdhsa_user_sgpr_count 6
		.amdhsa_user_sgpr_private_segment_buffer 1
		.amdhsa_user_sgpr_dispatch_ptr 0
		.amdhsa_user_sgpr_queue_ptr 0
		.amdhsa_user_sgpr_kernarg_segment_ptr 1
		.amdhsa_user_sgpr_dispatch_id 0
		.amdhsa_user_sgpr_flat_scratch_init 0
		.amdhsa_user_sgpr_private_segment_size 0
		.amdhsa_uses_dynamic_stack 0
		.amdhsa_system_sgpr_private_segment_wavefront_offset 0
		.amdhsa_system_sgpr_workgroup_id_x 1
		.amdhsa_system_sgpr_workgroup_id_y 0
		.amdhsa_system_sgpr_workgroup_id_z 0
		.amdhsa_system_sgpr_workgroup_info 0
		.amdhsa_system_vgpr_workitem_id 0
		.amdhsa_next_free_vgpr 29
		.amdhsa_next_free_sgpr 61
		.amdhsa_reserve_vcc 1
		.amdhsa_reserve_flat_scratch 0
		.amdhsa_float_round_mode_32 0
		.amdhsa_float_round_mode_16_64 0
		.amdhsa_float_denorm_mode_32 3
		.amdhsa_float_denorm_mode_16_64 3
		.amdhsa_dx10_clamp 1
		.amdhsa_ieee_mode 1
		.amdhsa_fp16_overflow 0
		.amdhsa_exception_fp_ieee_invalid_op 0
		.amdhsa_exception_fp_denorm_src 0
		.amdhsa_exception_fp_ieee_div_zero 0
		.amdhsa_exception_fp_ieee_overflow 0
		.amdhsa_exception_fp_ieee_underflow 0
		.amdhsa_exception_fp_ieee_inexact 0
		.amdhsa_exception_int_div_zero 0
	.end_amdhsa_kernel
	.section	.text._Z11rank_kernelILj510ELj1ELj4ELb1EL18RadixRankAlgorithm0ExEvPKT4_Pijj,"axG",@progbits,_Z11rank_kernelILj510ELj1ELj4ELb1EL18RadixRankAlgorithm0ExEvPKT4_Pijj,comdat
.Lfunc_end17:
	.size	_Z11rank_kernelILj510ELj1ELj4ELb1EL18RadixRankAlgorithm0ExEvPKT4_Pijj, .Lfunc_end17-_Z11rank_kernelILj510ELj1ELj4ELb1EL18RadixRankAlgorithm0ExEvPKT4_Pijj
                                        ; -- End function
	.set _Z11rank_kernelILj510ELj1ELj4ELb1EL18RadixRankAlgorithm0ExEvPKT4_Pijj.num_vgpr, 16
	.set _Z11rank_kernelILj510ELj1ELj4ELb1EL18RadixRankAlgorithm0ExEvPKT4_Pijj.num_agpr, 0
	.set _Z11rank_kernelILj510ELj1ELj4ELb1EL18RadixRankAlgorithm0ExEvPKT4_Pijj.numbered_sgpr, 10
	.set _Z11rank_kernelILj510ELj1ELj4ELb1EL18RadixRankAlgorithm0ExEvPKT4_Pijj.num_named_barrier, 0
	.set _Z11rank_kernelILj510ELj1ELj4ELb1EL18RadixRankAlgorithm0ExEvPKT4_Pijj.private_seg_size, 0
	.set _Z11rank_kernelILj510ELj1ELj4ELb1EL18RadixRankAlgorithm0ExEvPKT4_Pijj.uses_vcc, 1
	.set _Z11rank_kernelILj510ELj1ELj4ELb1EL18RadixRankAlgorithm0ExEvPKT4_Pijj.uses_flat_scratch, 0
	.set _Z11rank_kernelILj510ELj1ELj4ELb1EL18RadixRankAlgorithm0ExEvPKT4_Pijj.has_dyn_sized_stack, 0
	.set _Z11rank_kernelILj510ELj1ELj4ELb1EL18RadixRankAlgorithm0ExEvPKT4_Pijj.has_recursion, 0
	.set _Z11rank_kernelILj510ELj1ELj4ELb1EL18RadixRankAlgorithm0ExEvPKT4_Pijj.has_indirect_call, 0
	.section	.AMDGPU.csdata,"",@progbits
; Kernel info:
; codeLenInByte = 928
; TotalNumSgprs: 14
; NumVgprs: 16
; ScratchSize: 0
; MemoryBound: 0
; FloatMode: 240
; IeeeMode: 1
; LDSByteSize: 16352 bytes/workgroup (compile time only)
; SGPRBlocks: 8
; VGPRBlocks: 7
; NumSGPRsForWavesPerEU: 65
; NumVGPRsForWavesPerEU: 29
; Occupancy: 8
; WaveLimiterHint : 0
; COMPUTE_PGM_RSRC2:SCRATCH_EN: 0
; COMPUTE_PGM_RSRC2:USER_SGPR: 6
; COMPUTE_PGM_RSRC2:TRAP_HANDLER: 0
; COMPUTE_PGM_RSRC2:TGID_X_EN: 1
; COMPUTE_PGM_RSRC2:TGID_Y_EN: 0
; COMPUTE_PGM_RSRC2:TGID_Z_EN: 0
; COMPUTE_PGM_RSRC2:TIDIG_COMP_CNT: 0
	.section	.text._Z11rank_kernelILj37ELj1ELj4ELb0EL18RadixRankAlgorithm0EfEvPKT4_Pijj,"axG",@progbits,_Z11rank_kernelILj37ELj1ELj4ELb0EL18RadixRankAlgorithm0EfEvPKT4_Pijj,comdat
	.protected	_Z11rank_kernelILj37ELj1ELj4ELb0EL18RadixRankAlgorithm0EfEvPKT4_Pijj ; -- Begin function _Z11rank_kernelILj37ELj1ELj4ELb0EL18RadixRankAlgorithm0EfEvPKT4_Pijj
	.globl	_Z11rank_kernelILj37ELj1ELj4ELb0EL18RadixRankAlgorithm0EfEvPKT4_Pijj
	.p2align	8
	.type	_Z11rank_kernelILj37ELj1ELj4ELb0EL18RadixRankAlgorithm0EfEvPKT4_Pijj,@function
_Z11rank_kernelILj37ELj1ELj4ELb0EL18RadixRankAlgorithm0EfEvPKT4_Pijj: ; @_Z11rank_kernelILj37ELj1ELj4ELb0EL18RadixRankAlgorithm0EfEvPKT4_Pijj
; %bb.0:
	s_load_dwordx4 s[0:3], s[4:5], 0x0
	s_mul_i32 s6, s6, 37
	s_mov_b32 s7, 0
	s_lshl_b64 s[6:7], s[6:7], 2
	v_lshlrev_b32_e32 v1, 2, v0
	s_waitcnt lgkmcnt(0)
	s_add_u32 s0, s0, s6
	s_addc_u32 s1, s1, s7
	global_load_dword v2, v1, s[0:1]
	s_movk_i32 s0, 0x128
	v_mov_b32_e32 v3, 0
	v_cmp_gt_u32_e32 vcc, s0, v0
	s_and_saveexec_b64 s[0:1], vcc
	s_cbranch_execz .LBB18_9
; %bb.1:
	s_movk_i32 s8, 0x103
	v_cmp_gt_u32_e32 vcc, s8, v0
	ds_write_b32 v1, v3
	s_and_b64 exec, exec, vcc
	s_cbranch_execz .LBB18_9
; %bb.2:
	s_movk_i32 s8, 0xde
	v_mov_b32_e32 v3, 0
	v_cmp_gt_u32_e32 vcc, s8, v0
	ds_write_b32 v1, v3 offset:148
	s_and_b64 exec, exec, vcc
	s_cbranch_execz .LBB18_9
; %bb.3:
	s_movk_i32 s8, 0xb9
	v_cmp_gt_u32_e32 vcc, s8, v0
	ds_write_b32 v1, v3 offset:296
	s_and_b64 exec, exec, vcc
	s_cbranch_execz .LBB18_9
; %bb.4:
	s_movk_i32 s8, 0x94
	v_mov_b32_e32 v3, 0
	v_cmp_gt_u32_e32 vcc, s8, v0
	ds_write_b32 v1, v3 offset:444
	s_and_b64 exec, exec, vcc
	s_cbranch_execz .LBB18_9
; %bb.5:
	s_movk_i32 s8, 0x6f
	v_cmp_gt_u32_e32 vcc, s8, v0
	ds_write_b32 v1, v3 offset:592
	s_and_b64 exec, exec, vcc
	s_cbranch_execz .LBB18_9
; %bb.6:
	s_movk_i32 s8, 0x4a
	v_mov_b32_e32 v3, 0
	v_cmp_gt_u32_e32 vcc, s8, v0
	ds_write_b32 v1, v3 offset:740
	s_and_b64 exec, exec, vcc
	s_cbranch_execz .LBB18_9
; %bb.7:
	v_cmp_gt_u32_e32 vcc, 37, v0
	ds_write_b32 v1, v3 offset:888
	s_and_b64 exec, exec, vcc
; %bb.8:
	v_mov_b32_e32 v3, 0
	ds_write_b32 v1, v3 offset:1036
.LBB18_9:
	s_or_b64 exec, exec, s[0:1]
	s_load_dwordx2 s[0:1], s[4:5], 0x10
	v_bfrev_b32_e32 v3, 1
	s_waitcnt vmcnt(0)
	v_cmp_lt_i32_e32 vcc, -1, v2
	v_cndmask_b32_e32 v4, -1, v3, vcc
	v_xor_b32_e32 v2, v4, v2
	s_brev_b32 s4, -2
	s_waitcnt lgkmcnt(0)
	s_and_b32 s1, s1, 31
	s_and_b32 s0, s0, 31
	v_cmp_ne_u32_e32 vcc, s4, v2
	s_add_i32 s0, s0, s1
	v_cndmask_b32_e32 v2, v3, v2, vcc
	s_sub_i32 s0, 32, s0
	v_lshlrev_b32_e32 v2, s0, v2
	s_sub_i32 s0, 32, s1
	s_cmp_lg_u32 s1, 0
	v_lshrrev_b32_e32 v2, s0, v2
	s_cselect_b64 vcc, -1, 0
	v_cndmask_b32_e32 v2, 0, v2, vcc
	v_and_b32_e32 v3, 7, v2
	v_lshrrev_b32_e32 v2, 2, v2
	v_mad_u32_u24 v3, v3, 37, v0
	v_and_b32_e32 v2, 0x3ffffffe, v2
	v_lshl_add_u32 v2, v3, 2, v2
	ds_read_u16 v3, v2
	s_waitcnt lgkmcnt(0)
	v_add_u16_e32 v4, 1, v3
	ds_write_b16 v2, v4
	v_lshlrev_b32_e32 v4, 5, v0
	s_waitcnt lgkmcnt(0)
	; wave barrier
	ds_read_b128 v[5:8], v4
	ds_read_b128 v[9:12], v4 offset:16
	s_waitcnt lgkmcnt(1)
	v_add_u32_e32 v5, v6, v5
	v_add3_u32 v5, v5, v7, v8
	s_waitcnt lgkmcnt(0)
	v_add3_u32 v5, v5, v9, v10
	v_add3_u32 v6, v5, v11, v12
	v_mbcnt_lo_u32_b32 v5, -1, 0
	v_mbcnt_hi_u32_b32 v5, -1, v5
	v_and_b32_e32 v7, 15, v5
	v_mov_b32_dpp v8, v6 row_shr:1 row_mask:0xf bank_mask:0xf
	v_cmp_ne_u32_e32 vcc, 0, v7
	v_cndmask_b32_e32 v8, 0, v8, vcc
	v_add_u32_e32 v6, v8, v6
	v_cmp_lt_u32_e32 vcc, 1, v7
	s_nop 0
	v_mov_b32_dpp v8, v6 row_shr:2 row_mask:0xf bank_mask:0xf
	v_cndmask_b32_e32 v8, 0, v8, vcc
	v_add_u32_e32 v6, v6, v8
	v_cmp_lt_u32_e32 vcc, 3, v7
	s_nop 0
	v_mov_b32_dpp v8, v6 row_shr:4 row_mask:0xf bank_mask:0xf
	v_cndmask_b32_e32 v8, 0, v8, vcc
	v_add_u32_e32 v6, v6, v8
	v_cmp_lt_u32_e32 vcc, 7, v7
	s_nop 0
	v_mov_b32_dpp v8, v6 row_shr:8 row_mask:0xf bank_mask:0xf
	v_cndmask_b32_e32 v7, 0, v8, vcc
	v_add_u32_e32 v6, v6, v7
	v_bfe_i32 v8, v5, 4, 1
	v_cmp_lt_u32_e32 vcc, 31, v5
	v_mov_b32_dpp v7, v6 row_bcast:15 row_mask:0xf bank_mask:0xf
	v_and_b32_e32 v7, v8, v7
	v_add_u32_e32 v6, v6, v7
	s_nop 1
	v_mov_b32_dpp v7, v6 row_bcast:31 row_mask:0xf bank_mask:0xf
	v_cndmask_b32_e32 v7, 0, v7, vcc
	v_add_u32_e32 v6, v6, v7
	v_cmp_eq_u32_e32 vcc, 36, v0
	s_and_saveexec_b64 s[0:1], vcc
; %bb.10:
	v_mov_b32_e32 v0, 0
	ds_write_b32 v0, v6 offset:1184
; %bb.11:
	s_or_b64 exec, exec, s[0:1]
	v_subrev_co_u32_e32 v0, vcc, 1, v5
	v_and_b32_e32 v7, 64, v5
	v_cmp_lt_i32_e64 s[0:1], v0, v7
	v_cndmask_b32_e64 v0, v0, v5, s[0:1]
	v_lshlrev_b32_e32 v0, 2, v0
	ds_bpermute_b32 v0, v0, v6
	v_mov_b32_e32 v5, 0
	s_waitcnt lgkmcnt(0)
	; wave barrier
	ds_read_b32 v9, v5 offset:1184
	ds_read_b128 v[5:8], v4
	v_cndmask_b32_e64 v0, v0, 0, vcc
	ds_read_b96 v[13:15], v4 offset:16
	s_add_u32 s0, s2, s6
	s_waitcnt lgkmcnt(2)
	v_lshl_add_u32 v9, v9, 16, v0
	s_waitcnt lgkmcnt(1)
	v_add_u32_e32 v10, v9, v5
	v_add_u32_e32 v11, v6, v10
	;; [unrolled: 1-line block ×4, first 2 shown]
	s_waitcnt lgkmcnt(0)
	v_add_u32_e32 v6, v13, v5
	v_add_u32_e32 v7, v14, v6
	;; [unrolled: 1-line block ×3, first 2 shown]
	ds_write_b128 v4, v[9:12]
	ds_write_b128 v4, v[5:8] offset:16
	s_waitcnt lgkmcnt(0)
	; wave barrier
	ds_read_u16 v0, v2
	s_addc_u32 s1, s3, s7
	s_waitcnt lgkmcnt(0)
	v_add_u32_sdwa v0, v0, v3 dst_sel:DWORD dst_unused:UNUSED_PAD src0_sel:DWORD src1_sel:WORD_0
	global_store_dword v1, v0, s[0:1]
	s_endpgm
	.section	.rodata,"a",@progbits
	.p2align	6, 0x0
	.amdhsa_kernel _Z11rank_kernelILj37ELj1ELj4ELb0EL18RadixRankAlgorithm0EfEvPKT4_Pijj
		.amdhsa_group_segment_fixed_size 1200
		.amdhsa_private_segment_fixed_size 0
		.amdhsa_kernarg_size 24
		.amdhsa_user_sgpr_count 6
		.amdhsa_user_sgpr_private_segment_buffer 1
		.amdhsa_user_sgpr_dispatch_ptr 0
		.amdhsa_user_sgpr_queue_ptr 0
		.amdhsa_user_sgpr_kernarg_segment_ptr 1
		.amdhsa_user_sgpr_dispatch_id 0
		.amdhsa_user_sgpr_flat_scratch_init 0
		.amdhsa_user_sgpr_private_segment_size 0
		.amdhsa_uses_dynamic_stack 0
		.amdhsa_system_sgpr_private_segment_wavefront_offset 0
		.amdhsa_system_sgpr_workgroup_id_x 1
		.amdhsa_system_sgpr_workgroup_id_y 0
		.amdhsa_system_sgpr_workgroup_id_z 0
		.amdhsa_system_sgpr_workgroup_info 0
		.amdhsa_system_vgpr_workitem_id 0
		.amdhsa_next_free_vgpr 16
		.amdhsa_next_free_sgpr 9
		.amdhsa_reserve_vcc 1
		.amdhsa_reserve_flat_scratch 0
		.amdhsa_float_round_mode_32 0
		.amdhsa_float_round_mode_16_64 0
		.amdhsa_float_denorm_mode_32 3
		.amdhsa_float_denorm_mode_16_64 3
		.amdhsa_dx10_clamp 1
		.amdhsa_ieee_mode 1
		.amdhsa_fp16_overflow 0
		.amdhsa_exception_fp_ieee_invalid_op 0
		.amdhsa_exception_fp_denorm_src 0
		.amdhsa_exception_fp_ieee_div_zero 0
		.amdhsa_exception_fp_ieee_overflow 0
		.amdhsa_exception_fp_ieee_underflow 0
		.amdhsa_exception_fp_ieee_inexact 0
		.amdhsa_exception_int_div_zero 0
	.end_amdhsa_kernel
	.section	.text._Z11rank_kernelILj37ELj1ELj4ELb0EL18RadixRankAlgorithm0EfEvPKT4_Pijj,"axG",@progbits,_Z11rank_kernelILj37ELj1ELj4ELb0EL18RadixRankAlgorithm0EfEvPKT4_Pijj,comdat
.Lfunc_end18:
	.size	_Z11rank_kernelILj37ELj1ELj4ELb0EL18RadixRankAlgorithm0EfEvPKT4_Pijj, .Lfunc_end18-_Z11rank_kernelILj37ELj1ELj4ELb0EL18RadixRankAlgorithm0EfEvPKT4_Pijj
                                        ; -- End function
	.set _Z11rank_kernelILj37ELj1ELj4ELb0EL18RadixRankAlgorithm0EfEvPKT4_Pijj.num_vgpr, 16
	.set _Z11rank_kernelILj37ELj1ELj4ELb0EL18RadixRankAlgorithm0EfEvPKT4_Pijj.num_agpr, 0
	.set _Z11rank_kernelILj37ELj1ELj4ELb0EL18RadixRankAlgorithm0EfEvPKT4_Pijj.numbered_sgpr, 9
	.set _Z11rank_kernelILj37ELj1ELj4ELb0EL18RadixRankAlgorithm0EfEvPKT4_Pijj.num_named_barrier, 0
	.set _Z11rank_kernelILj37ELj1ELj4ELb0EL18RadixRankAlgorithm0EfEvPKT4_Pijj.private_seg_size, 0
	.set _Z11rank_kernelILj37ELj1ELj4ELb0EL18RadixRankAlgorithm0EfEvPKT4_Pijj.uses_vcc, 1
	.set _Z11rank_kernelILj37ELj1ELj4ELb0EL18RadixRankAlgorithm0EfEvPKT4_Pijj.uses_flat_scratch, 0
	.set _Z11rank_kernelILj37ELj1ELj4ELb0EL18RadixRankAlgorithm0EfEvPKT4_Pijj.has_dyn_sized_stack, 0
	.set _Z11rank_kernelILj37ELj1ELj4ELb0EL18RadixRankAlgorithm0EfEvPKT4_Pijj.has_recursion, 0
	.set _Z11rank_kernelILj37ELj1ELj4ELb0EL18RadixRankAlgorithm0EfEvPKT4_Pijj.has_indirect_call, 0
	.section	.AMDGPU.csdata,"",@progbits
; Kernel info:
; codeLenInByte = 820
; TotalNumSgprs: 13
; NumVgprs: 16
; ScratchSize: 0
; MemoryBound: 0
; FloatMode: 240
; IeeeMode: 1
; LDSByteSize: 1200 bytes/workgroup (compile time only)
; SGPRBlocks: 1
; VGPRBlocks: 3
; NumSGPRsForWavesPerEU: 13
; NumVGPRsForWavesPerEU: 16
; Occupancy: 10
; WaveLimiterHint : 0
; COMPUTE_PGM_RSRC2:SCRATCH_EN: 0
; COMPUTE_PGM_RSRC2:USER_SGPR: 6
; COMPUTE_PGM_RSRC2:TRAP_HANDLER: 0
; COMPUTE_PGM_RSRC2:TGID_X_EN: 1
; COMPUTE_PGM_RSRC2:TGID_Y_EN: 0
; COMPUTE_PGM_RSRC2:TGID_Z_EN: 0
; COMPUTE_PGM_RSRC2:TIDIG_COMP_CNT: 0
	.section	.text._Z11rank_kernelILj65ELj1ELj4ELb0EL18RadixRankAlgorithm0EdEvPKT4_Pijj,"axG",@progbits,_Z11rank_kernelILj65ELj1ELj4ELb0EL18RadixRankAlgorithm0EdEvPKT4_Pijj,comdat
	.protected	_Z11rank_kernelILj65ELj1ELj4ELb0EL18RadixRankAlgorithm0EdEvPKT4_Pijj ; -- Begin function _Z11rank_kernelILj65ELj1ELj4ELb0EL18RadixRankAlgorithm0EdEvPKT4_Pijj
	.globl	_Z11rank_kernelILj65ELj1ELj4ELb0EL18RadixRankAlgorithm0EdEvPKT4_Pijj
	.p2align	8
	.type	_Z11rank_kernelILj65ELj1ELj4ELb0EL18RadixRankAlgorithm0EdEvPKT4_Pijj,@function
_Z11rank_kernelILj65ELj1ELj4ELb0EL18RadixRankAlgorithm0EdEvPKT4_Pijj: ; @_Z11rank_kernelILj65ELj1ELj4ELb0EL18RadixRankAlgorithm0EdEvPKT4_Pijj
; %bb.0:
	s_load_dwordx4 s[0:3], s[4:5], 0x0
	s_mulk_i32 s6, 0x41
	s_mov_b32 s7, 0
	s_lshl_b64 s[8:9], s[6:7], 3
	v_lshlrev_b32_e32 v1, 3, v0
	s_waitcnt lgkmcnt(0)
	s_add_u32 s0, s0, s8
	s_addc_u32 s1, s1, s9
	global_load_dwordx2 v[1:2], v1, s[0:1]
	s_movk_i32 s0, 0x208
	v_mov_b32_e32 v4, 0
	v_cmp_gt_u32_e32 vcc, s0, v0
	v_lshlrev_b32_e32 v3, 2, v0
	s_and_saveexec_b64 s[0:1], vcc
	s_cbranch_execz .LBB19_9
; %bb.1:
	s_movk_i32 s8, 0x1c7
	v_cmp_gt_u32_e32 vcc, s8, v0
	ds_write_b32 v3, v4
	s_and_b64 exec, exec, vcc
	s_cbranch_execz .LBB19_9
; %bb.2:
	s_movk_i32 s8, 0x186
	v_mov_b32_e32 v4, 0
	v_cmp_gt_u32_e32 vcc, s8, v0
	ds_write_b32 v3, v4 offset:260
	s_and_b64 exec, exec, vcc
	s_cbranch_execz .LBB19_9
; %bb.3:
	s_movk_i32 s8, 0x145
	v_cmp_gt_u32_e32 vcc, s8, v0
	ds_write_b32 v3, v4 offset:520
	s_and_b64 exec, exec, vcc
	s_cbranch_execz .LBB19_9
; %bb.4:
	s_movk_i32 s8, 0x104
	v_mov_b32_e32 v4, 0
	v_cmp_gt_u32_e32 vcc, s8, v0
	ds_write_b32 v3, v4 offset:780
	s_and_b64 exec, exec, vcc
	s_cbranch_execz .LBB19_9
; %bb.5:
	s_movk_i32 s8, 0xc3
	v_cmp_gt_u32_e32 vcc, s8, v0
	ds_write_b32 v3, v4 offset:1040
	;; [unrolled: 13-line block ×3, first 2 shown]
	s_and_b64 exec, exec, vcc
; %bb.8:
	v_mov_b32_e32 v4, 0
	ds_write_b32 v3, v4 offset:1820
.LBB19_9:
	s_or_b64 exec, exec, s[0:1]
	s_load_dwordx2 s[0:1], s[4:5], 0x10
	s_waitcnt lgkmcnt(0)
	s_and_b32 s1, s1, 63
	s_cmp_lg_u32 s1, 0
	s_cbranch_scc0 .LBB19_11
; %bb.10:
	s_waitcnt vmcnt(0)
	v_cmp_lt_i64_e32 vcc, -1, v[1:2]
	v_bfrev_b32_e32 v4, 1
	s_mov_b32 s4, -1
	v_cndmask_b32_e32 v5, -1, v4, vcc
	v_ashrrev_i32_e32 v6, 31, v2
	s_brev_b32 s5, -2
	v_xor_b32_e32 v2, v5, v2
	v_xor_b32_e32 v1, v6, v1
	v_cmp_ne_u64_e32 vcc, s[4:5], v[1:2]
	s_and_b32 s0, s0, 63
	s_add_i32 s0, s0, s1
	v_cndmask_b32_e32 v2, v4, v2, vcc
	v_cndmask_b32_e32 v1, 0, v1, vcc
	s_sub_i32 s0, 64, s0
	v_lshlrev_b64 v[1:2], s0, v[1:2]
	s_sub_i32 s0, 64, s1
	v_lshrrev_b64 v[1:2], s0, v[1:2]
	s_branch .LBB19_12
.LBB19_11:
	s_waitcnt vmcnt(0)
	v_mov_b32_e32 v1, 0
.LBB19_12:
	v_and_b32_e32 v2, 7, v1
	s_movk_i32 s0, 0x41
	v_lshrrev_b32_e32 v1, 2, v1
	v_mad_u32_u24 v2, v2, s0, v0
	v_and_b32_e32 v1, 0x3ffffffe, v1
	v_lshl_add_u32 v1, v2, 2, v1
	ds_read_u16 v2, v1
	v_cmp_gt_u32_e64 s[0:1], 64, v0
	s_waitcnt lgkmcnt(0)
	v_add_u16_e32 v4, 1, v2
	ds_write_b16 v1, v4
	v_lshlrev_b32_e32 v4, 5, v0
	s_waitcnt lgkmcnt(0)
	s_barrier
	ds_read_b128 v[5:8], v4
	ds_read_b128 v[9:12], v4 offset:16
	s_waitcnt lgkmcnt(1)
	v_add_u32_e32 v5, v6, v5
	v_add3_u32 v5, v5, v7, v8
	s_waitcnt lgkmcnt(0)
	v_add3_u32 v5, v5, v9, v10
	v_add3_u32 v6, v5, v11, v12
	v_mbcnt_lo_u32_b32 v5, -1, 0
	v_mbcnt_hi_u32_b32 v5, -1, v5
	v_and_b32_e32 v7, 15, v5
	v_mov_b32_dpp v8, v6 row_shr:1 row_mask:0xf bank_mask:0xf
	v_cmp_ne_u32_e32 vcc, 0, v7
	v_cndmask_b32_e32 v8, 0, v8, vcc
	v_add_u32_e32 v6, v8, v6
	v_cmp_lt_u32_e32 vcc, 1, v7
	s_nop 0
	v_mov_b32_dpp v8, v6 row_shr:2 row_mask:0xf bank_mask:0xf
	v_cndmask_b32_e32 v8, 0, v8, vcc
	v_add_u32_e32 v6, v6, v8
	v_cmp_lt_u32_e32 vcc, 3, v7
	s_nop 0
	v_mov_b32_dpp v8, v6 row_shr:4 row_mask:0xf bank_mask:0xf
	;; [unrolled: 5-line block ×3, first 2 shown]
	v_cndmask_b32_e32 v7, 0, v8, vcc
	v_add_u32_e32 v6, v6, v7
	v_bfe_i32 v8, v5, 4, 1
	v_cmp_lt_u32_e32 vcc, 31, v5
	v_mov_b32_dpp v7, v6 row_bcast:15 row_mask:0xf bank_mask:0xf
	v_and_b32_e32 v7, v8, v7
	v_add_u32_e32 v6, v6, v7
	v_cndmask_b32_e64 v8, 64, 63, s[0:1]
	v_cmp_eq_u32_e64 s[0:1], v0, v8
	v_mov_b32_dpp v7, v6 row_bcast:31 row_mask:0xf bank_mask:0xf
	v_cndmask_b32_e32 v7, 0, v7, vcc
	v_add_u32_e32 v6, v6, v7
	v_lshrrev_b32_e32 v7, 6, v0
	v_cmp_lt_u32_e32 vcc, 63, v0
	v_lshlrev_b32_e32 v7, 2, v7
	s_and_saveexec_b64 s[4:5], s[0:1]
	s_xor_b64 s[0:1], exec, s[4:5]
; %bb.13:
	ds_write_b32 v7, v6 offset:2080
; %bb.14:
	s_or_b64 exec, exec, s[0:1]
	v_cmp_gt_u32_e64 s[0:1], 2, v0
	s_waitcnt lgkmcnt(0)
	s_barrier
	s_and_saveexec_b64 s[4:5], s[0:1]
	s_cbranch_execz .LBB19_16
; %bb.15:
	s_movk_i32 s0, 0xffe4
	v_mad_i32_i24 v0, v0, s0, v4
	ds_read_b32 v8, v0 offset:2080
	v_bfe_i32 v9, v5, 0, 1
	s_waitcnt lgkmcnt(0)
	v_mov_b32_dpp v10, v8 row_shr:1 row_mask:0xf bank_mask:0xf
	v_and_b32_e32 v9, v9, v10
	v_add_u32_e32 v8, v9, v8
	ds_write_b32 v0, v8 offset:2080
.LBB19_16:
	s_or_b64 exec, exec, s[4:5]
	v_mov_b32_e32 v8, 0
	v_mov_b32_e32 v0, 0
	s_waitcnt lgkmcnt(0)
	s_barrier
	s_and_saveexec_b64 s[0:1], vcc
; %bb.17:
	ds_read_b32 v0, v7 offset:2076
; %bb.18:
	s_or_b64 exec, exec, s[0:1]
	v_subrev_co_u32_e32 v7, vcc, 1, v5
	v_and_b32_e32 v9, 64, v5
	v_cmp_lt_i32_e64 s[0:1], v7, v9
	v_cndmask_b32_e64 v5, v7, v5, s[0:1]
	s_waitcnt lgkmcnt(0)
	v_add_u32_e32 v6, v0, v6
	v_lshlrev_b32_e32 v5, 2, v5
	ds_bpermute_b32 v9, v5, v6
	ds_read_b32 v10, v8 offset:2084
	ds_read_b128 v[5:8], v4
	ds_read_b96 v[13:15], v4 offset:16
	s_lshl_b64 s[0:1], s[6:7], 2
	s_add_u32 s0, s2, s0
	s_waitcnt lgkmcnt(3)
	v_cndmask_b32_e32 v0, v9, v0, vcc
	s_waitcnt lgkmcnt(2)
	v_lshl_add_u32 v9, v10, 16, v0
	s_waitcnt lgkmcnt(1)
	v_add_u32_e32 v10, v9, v5
	v_add_u32_e32 v11, v6, v10
	v_add_u32_e32 v12, v7, v11
	v_add_u32_e32 v5, v8, v12
	s_waitcnt lgkmcnt(0)
	v_add_u32_e32 v6, v13, v5
	v_add_u32_e32 v7, v14, v6
	v_add_u32_e32 v8, v15, v7
	ds_write_b128 v4, v[9:12]
	ds_write_b128 v4, v[5:8] offset:16
	s_waitcnt lgkmcnt(0)
	s_barrier
	ds_read_u16 v0, v1
	s_addc_u32 s1, s3, s1
	s_waitcnt lgkmcnt(0)
	v_add_u32_sdwa v0, v0, v2 dst_sel:DWORD dst_unused:UNUSED_PAD src0_sel:DWORD src1_sel:WORD_0
	global_store_dword v3, v0, s[0:1]
	s_endpgm
	.section	.rodata,"a",@progbits
	.p2align	6, 0x0
	.amdhsa_kernel _Z11rank_kernelILj65ELj1ELj4ELb0EL18RadixRankAlgorithm0EdEvPKT4_Pijj
		.amdhsa_group_segment_fixed_size 2096
		.amdhsa_private_segment_fixed_size 0
		.amdhsa_kernarg_size 24
		.amdhsa_user_sgpr_count 6
		.amdhsa_user_sgpr_private_segment_buffer 1
		.amdhsa_user_sgpr_dispatch_ptr 0
		.amdhsa_user_sgpr_queue_ptr 0
		.amdhsa_user_sgpr_kernarg_segment_ptr 1
		.amdhsa_user_sgpr_dispatch_id 0
		.amdhsa_user_sgpr_flat_scratch_init 0
		.amdhsa_user_sgpr_private_segment_size 0
		.amdhsa_uses_dynamic_stack 0
		.amdhsa_system_sgpr_private_segment_wavefront_offset 0
		.amdhsa_system_sgpr_workgroup_id_x 1
		.amdhsa_system_sgpr_workgroup_id_y 0
		.amdhsa_system_sgpr_workgroup_id_z 0
		.amdhsa_system_sgpr_workgroup_info 0
		.amdhsa_system_vgpr_workitem_id 0
		.amdhsa_next_free_vgpr 29
		.amdhsa_next_free_sgpr 61
		.amdhsa_reserve_vcc 1
		.amdhsa_reserve_flat_scratch 0
		.amdhsa_float_round_mode_32 0
		.amdhsa_float_round_mode_16_64 0
		.amdhsa_float_denorm_mode_32 3
		.amdhsa_float_denorm_mode_16_64 3
		.amdhsa_dx10_clamp 1
		.amdhsa_ieee_mode 1
		.amdhsa_fp16_overflow 0
		.amdhsa_exception_fp_ieee_invalid_op 0
		.amdhsa_exception_fp_denorm_src 0
		.amdhsa_exception_fp_ieee_div_zero 0
		.amdhsa_exception_fp_ieee_overflow 0
		.amdhsa_exception_fp_ieee_underflow 0
		.amdhsa_exception_fp_ieee_inexact 0
		.amdhsa_exception_int_div_zero 0
	.end_amdhsa_kernel
	.section	.text._Z11rank_kernelILj65ELj1ELj4ELb0EL18RadixRankAlgorithm0EdEvPKT4_Pijj,"axG",@progbits,_Z11rank_kernelILj65ELj1ELj4ELb0EL18RadixRankAlgorithm0EdEvPKT4_Pijj,comdat
.Lfunc_end19:
	.size	_Z11rank_kernelILj65ELj1ELj4ELb0EL18RadixRankAlgorithm0EdEvPKT4_Pijj, .Lfunc_end19-_Z11rank_kernelILj65ELj1ELj4ELb0EL18RadixRankAlgorithm0EdEvPKT4_Pijj
                                        ; -- End function
	.set _Z11rank_kernelILj65ELj1ELj4ELb0EL18RadixRankAlgorithm0EdEvPKT4_Pijj.num_vgpr, 16
	.set _Z11rank_kernelILj65ELj1ELj4ELb0EL18RadixRankAlgorithm0EdEvPKT4_Pijj.num_agpr, 0
	.set _Z11rank_kernelILj65ELj1ELj4ELb0EL18RadixRankAlgorithm0EdEvPKT4_Pijj.numbered_sgpr, 10
	.set _Z11rank_kernelILj65ELj1ELj4ELb0EL18RadixRankAlgorithm0EdEvPKT4_Pijj.num_named_barrier, 0
	.set _Z11rank_kernelILj65ELj1ELj4ELb0EL18RadixRankAlgorithm0EdEvPKT4_Pijj.private_seg_size, 0
	.set _Z11rank_kernelILj65ELj1ELj4ELb0EL18RadixRankAlgorithm0EdEvPKT4_Pijj.uses_vcc, 1
	.set _Z11rank_kernelILj65ELj1ELj4ELb0EL18RadixRankAlgorithm0EdEvPKT4_Pijj.uses_flat_scratch, 0
	.set _Z11rank_kernelILj65ELj1ELj4ELb0EL18RadixRankAlgorithm0EdEvPKT4_Pijj.has_dyn_sized_stack, 0
	.set _Z11rank_kernelILj65ELj1ELj4ELb0EL18RadixRankAlgorithm0EdEvPKT4_Pijj.has_recursion, 0
	.set _Z11rank_kernelILj65ELj1ELj4ELb0EL18RadixRankAlgorithm0EdEvPKT4_Pijj.has_indirect_call, 0
	.section	.AMDGPU.csdata,"",@progbits
; Kernel info:
; codeLenInByte = 1020
; TotalNumSgprs: 14
; NumVgprs: 16
; ScratchSize: 0
; MemoryBound: 0
; FloatMode: 240
; IeeeMode: 1
; LDSByteSize: 2096 bytes/workgroup (compile time only)
; SGPRBlocks: 8
; VGPRBlocks: 7
; NumSGPRsForWavesPerEU: 65
; NumVGPRsForWavesPerEU: 29
; Occupancy: 8
; WaveLimiterHint : 0
; COMPUTE_PGM_RSRC2:SCRATCH_EN: 0
; COMPUTE_PGM_RSRC2:USER_SGPR: 6
; COMPUTE_PGM_RSRC2:TRAP_HANDLER: 0
; COMPUTE_PGM_RSRC2:TGID_X_EN: 1
; COMPUTE_PGM_RSRC2:TGID_Y_EN: 0
; COMPUTE_PGM_RSRC2:TGID_Z_EN: 0
; COMPUTE_PGM_RSRC2:TIDIG_COMP_CNT: 0
	.section	.text._Z11rank_kernelILj512ELj1ELj4ELb1EL18RadixRankAlgorithm0EtEvPKT4_Pijj,"axG",@progbits,_Z11rank_kernelILj512ELj1ELj4ELb1EL18RadixRankAlgorithm0EtEvPKT4_Pijj,comdat
	.protected	_Z11rank_kernelILj512ELj1ELj4ELb1EL18RadixRankAlgorithm0EtEvPKT4_Pijj ; -- Begin function _Z11rank_kernelILj512ELj1ELj4ELb1EL18RadixRankAlgorithm0EtEvPKT4_Pijj
	.globl	_Z11rank_kernelILj512ELj1ELj4ELb1EL18RadixRankAlgorithm0EtEvPKT4_Pijj
	.p2align	8
	.type	_Z11rank_kernelILj512ELj1ELj4ELb1EL18RadixRankAlgorithm0EtEvPKT4_Pijj,@function
_Z11rank_kernelILj512ELj1ELj4ELb1EL18RadixRankAlgorithm0EtEvPKT4_Pijj: ; @_Z11rank_kernelILj512ELj1ELj4ELb1EL18RadixRankAlgorithm0EtEvPKT4_Pijj
; %bb.0:
	s_load_dwordx4 s[0:3], s[4:5], 0x0
	s_lshl_b32 s6, s6, 9
	s_mov_b32 s7, 0
	s_lshl_b64 s[8:9], s[6:7], 1
	v_lshlrev_b32_e32 v1, 1, v0
	s_waitcnt lgkmcnt(0)
	s_add_u32 s0, s0, s8
	s_addc_u32 s1, s1, s9
	global_load_ushort v2, v1, s[0:1]
	v_or_b32_e32 v4, 0xc00, v0
	s_movk_i32 s8, 0xe00
	v_mov_b32_e32 v3, 0
	v_lshlrev_b32_e32 v1, 2, v0
	v_cmp_gt_u32_e32 vcc, s8, v4
	ds_write2st64_b32 v1, v3, v3 offset1:8
	ds_write2st64_b32 v1, v3, v3 offset0:16 offset1:24
	ds_write2st64_b32 v1, v3, v3 offset0:32 offset1:40
	ds_write_b32 v1, v3 offset:12288
	s_and_saveexec_b64 s[0:1], vcc
; %bb.1:
	ds_write_b32 v1, v3 offset:14336
; %bb.2:
	s_or_b64 exec, exec, s[0:1]
	s_load_dwordx2 s[0:1], s[4:5], 0x10
	s_waitcnt lgkmcnt(0)
	s_and_b32 s1, s1, 31
	s_and_b32 s0, s0, 31
	s_add_i32 s0, s0, s1
	s_sub_i32 s0, 32, s0
	s_sub_i32 s4, 32, s1
	s_waitcnt vmcnt(0)
	v_lshlrev_b32_sdwa v2, s0, v2 dst_sel:DWORD dst_unused:UNUSED_PAD src0_sel:DWORD src1_sel:WORD_0
	s_cmp_lg_u32 s1, 0
	v_bfe_u32 v2, v2, s4, 16
	v_xor_b32_e32 v2, 15, v2
	s_cselect_b64 vcc, -1, 0
	v_cndmask_b32_e32 v2, 15, v2, vcc
	v_lshlrev_b32_e32 v3, 9, v2
	v_lshrrev_b32_e32 v2, 2, v2
	v_and_or_b32 v3, v3, s8, v0
	v_and_b32_e32 v2, 0x3ffe, v2
	v_lshl_add_u32 v2, v3, 2, v2
	ds_read_u16 v3, v2
	s_waitcnt lgkmcnt(0)
	v_add_u16_e32 v4, 1, v3
	ds_write_b16 v2, v4
	v_mad_u32_u24 v4, v0, 28, v1
	s_waitcnt lgkmcnt(0)
	s_barrier
	ds_read_b128 v[5:8], v4
	ds_read_b128 v[9:12], v4 offset:16
	s_waitcnt lgkmcnt(1)
	v_add_u32_e32 v5, v6, v5
	v_add3_u32 v5, v5, v7, v8
	s_waitcnt lgkmcnt(0)
	v_add3_u32 v5, v5, v9, v10
	v_add3_u32 v6, v5, v11, v12
	v_mbcnt_lo_u32_b32 v5, -1, 0
	v_mbcnt_hi_u32_b32 v5, -1, v5
	v_and_b32_e32 v7, 15, v5
	v_mov_b32_dpp v8, v6 row_shr:1 row_mask:0xf bank_mask:0xf
	v_cmp_ne_u32_e32 vcc, 0, v7
	v_cndmask_b32_e32 v8, 0, v8, vcc
	v_add_u32_e32 v6, v8, v6
	v_cmp_lt_u32_e32 vcc, 1, v7
	s_nop 0
	v_mov_b32_dpp v8, v6 row_shr:2 row_mask:0xf bank_mask:0xf
	v_cndmask_b32_e32 v8, 0, v8, vcc
	v_add_u32_e32 v6, v6, v8
	v_cmp_lt_u32_e32 vcc, 3, v7
	s_nop 0
	v_mov_b32_dpp v8, v6 row_shr:4 row_mask:0xf bank_mask:0xf
	;; [unrolled: 5-line block ×3, first 2 shown]
	v_cndmask_b32_e32 v7, 0, v8, vcc
	v_add_u32_e32 v6, v6, v7
	v_bfe_i32 v8, v5, 4, 1
	v_cmp_lt_u32_e32 vcc, 31, v5
	v_mov_b32_dpp v7, v6 row_bcast:15 row_mask:0xf bank_mask:0xf
	v_and_b32_e32 v7, v8, v7
	v_add_u32_e32 v6, v6, v7
	v_or_b32_e32 v8, 63, v0
	s_nop 0
	v_mov_b32_dpp v7, v6 row_bcast:31 row_mask:0xf bank_mask:0xf
	v_cndmask_b32_e32 v7, 0, v7, vcc
	v_add_u32_e32 v6, v6, v7
	v_lshrrev_b32_e32 v7, 6, v0
	v_cmp_eq_u32_e32 vcc, v0, v8
	v_lshlrev_b32_e32 v7, 2, v7
	s_and_saveexec_b64 s[0:1], vcc
; %bb.3:
	ds_write_b32 v7, v6 offset:16384
; %bb.4:
	s_or_b64 exec, exec, s[0:1]
	v_cmp_gt_u32_e32 vcc, 8, v0
	s_waitcnt lgkmcnt(0)
	s_barrier
	s_and_saveexec_b64 s[0:1], vcc
	s_cbranch_execz .LBB20_6
; %bb.5:
	s_movk_i32 s4, 0xffe4
	v_mad_i32_i24 v8, v0, s4, v4
	ds_read_b32 v9, v8 offset:16384
	v_and_b32_e32 v10, 7, v5
	v_cmp_ne_u32_e32 vcc, 0, v10
	s_waitcnt lgkmcnt(0)
	v_mov_b32_dpp v11, v9 row_shr:1 row_mask:0xf bank_mask:0xf
	v_cndmask_b32_e32 v11, 0, v11, vcc
	v_add_u32_e32 v9, v11, v9
	v_cmp_lt_u32_e32 vcc, 1, v10
	s_nop 0
	v_mov_b32_dpp v11, v9 row_shr:2 row_mask:0xf bank_mask:0xf
	v_cndmask_b32_e32 v11, 0, v11, vcc
	v_add_u32_e32 v9, v9, v11
	v_cmp_lt_u32_e32 vcc, 3, v10
	s_nop 0
	v_mov_b32_dpp v11, v9 row_shr:4 row_mask:0xf bank_mask:0xf
	v_cndmask_b32_e32 v10, 0, v11, vcc
	v_add_u32_e32 v9, v9, v10
	ds_write_b32 v8, v9 offset:16384
.LBB20_6:
	s_or_b64 exec, exec, s[0:1]
	v_cmp_lt_u32_e32 vcc, 63, v0
	v_mov_b32_e32 v8, 0
	v_mov_b32_e32 v0, 0
	s_waitcnt lgkmcnt(0)
	s_barrier
	s_and_saveexec_b64 s[0:1], vcc
; %bb.7:
	ds_read_b32 v0, v7 offset:16380
; %bb.8:
	s_or_b64 exec, exec, s[0:1]
	v_subrev_co_u32_e32 v7, vcc, 1, v5
	v_and_b32_e32 v9, 64, v5
	v_cmp_lt_i32_e64 s[0:1], v7, v9
	v_cndmask_b32_e64 v5, v7, v5, s[0:1]
	s_waitcnt lgkmcnt(0)
	v_add_u32_e32 v6, v0, v6
	v_lshlrev_b32_e32 v5, 2, v5
	ds_bpermute_b32 v9, v5, v6
	ds_read_b32 v10, v8 offset:16412
	ds_read_b128 v[5:8], v4
	ds_read_b96 v[13:15], v4 offset:16
	s_lshl_b64 s[0:1], s[6:7], 2
	s_add_u32 s0, s2, s0
	s_waitcnt lgkmcnt(3)
	v_cndmask_b32_e32 v0, v9, v0, vcc
	s_waitcnt lgkmcnt(2)
	v_lshl_add_u32 v9, v10, 16, v0
	s_waitcnt lgkmcnt(1)
	v_add_u32_e32 v10, v9, v5
	v_add_u32_e32 v11, v6, v10
	;; [unrolled: 1-line block ×4, first 2 shown]
	s_waitcnt lgkmcnt(0)
	v_add_u32_e32 v6, v13, v5
	v_add_u32_e32 v7, v14, v6
	;; [unrolled: 1-line block ×3, first 2 shown]
	ds_write_b128 v4, v[9:12]
	ds_write_b128 v4, v[5:8] offset:16
	s_waitcnt lgkmcnt(0)
	s_barrier
	ds_read_u16 v0, v2
	s_addc_u32 s1, s3, s1
	s_waitcnt lgkmcnt(0)
	v_add_u32_sdwa v0, v0, v3 dst_sel:DWORD dst_unused:UNUSED_PAD src0_sel:DWORD src1_sel:WORD_0
	global_store_dword v1, v0, s[0:1]
	s_endpgm
	.section	.rodata,"a",@progbits
	.p2align	6, 0x0
	.amdhsa_kernel _Z11rank_kernelILj512ELj1ELj4ELb1EL18RadixRankAlgorithm0EtEvPKT4_Pijj
		.amdhsa_group_segment_fixed_size 16416
		.amdhsa_private_segment_fixed_size 0
		.amdhsa_kernarg_size 24
		.amdhsa_user_sgpr_count 6
		.amdhsa_user_sgpr_private_segment_buffer 1
		.amdhsa_user_sgpr_dispatch_ptr 0
		.amdhsa_user_sgpr_queue_ptr 0
		.amdhsa_user_sgpr_kernarg_segment_ptr 1
		.amdhsa_user_sgpr_dispatch_id 0
		.amdhsa_user_sgpr_flat_scratch_init 0
		.amdhsa_user_sgpr_private_segment_size 0
		.amdhsa_uses_dynamic_stack 0
		.amdhsa_system_sgpr_private_segment_wavefront_offset 0
		.amdhsa_system_sgpr_workgroup_id_x 1
		.amdhsa_system_sgpr_workgroup_id_y 0
		.amdhsa_system_sgpr_workgroup_id_z 0
		.amdhsa_system_sgpr_workgroup_info 0
		.amdhsa_system_vgpr_workitem_id 0
		.amdhsa_next_free_vgpr 37
		.amdhsa_next_free_sgpr 93
		.amdhsa_reserve_vcc 1
		.amdhsa_reserve_flat_scratch 0
		.amdhsa_float_round_mode_32 0
		.amdhsa_float_round_mode_16_64 0
		.amdhsa_float_denorm_mode_32 3
		.amdhsa_float_denorm_mode_16_64 3
		.amdhsa_dx10_clamp 1
		.amdhsa_ieee_mode 1
		.amdhsa_fp16_overflow 0
		.amdhsa_exception_fp_ieee_invalid_op 0
		.amdhsa_exception_fp_denorm_src 0
		.amdhsa_exception_fp_ieee_div_zero 0
		.amdhsa_exception_fp_ieee_overflow 0
		.amdhsa_exception_fp_ieee_underflow 0
		.amdhsa_exception_fp_ieee_inexact 0
		.amdhsa_exception_int_div_zero 0
	.end_amdhsa_kernel
	.section	.text._Z11rank_kernelILj512ELj1ELj4ELb1EL18RadixRankAlgorithm0EtEvPKT4_Pijj,"axG",@progbits,_Z11rank_kernelILj512ELj1ELj4ELb1EL18RadixRankAlgorithm0EtEvPKT4_Pijj,comdat
.Lfunc_end20:
	.size	_Z11rank_kernelILj512ELj1ELj4ELb1EL18RadixRankAlgorithm0EtEvPKT4_Pijj, .Lfunc_end20-_Z11rank_kernelILj512ELj1ELj4ELb1EL18RadixRankAlgorithm0EtEvPKT4_Pijj
                                        ; -- End function
	.set _Z11rank_kernelILj512ELj1ELj4ELb1EL18RadixRankAlgorithm0EtEvPKT4_Pijj.num_vgpr, 16
	.set _Z11rank_kernelILj512ELj1ELj4ELb1EL18RadixRankAlgorithm0EtEvPKT4_Pijj.num_agpr, 0
	.set _Z11rank_kernelILj512ELj1ELj4ELb1EL18RadixRankAlgorithm0EtEvPKT4_Pijj.numbered_sgpr, 10
	.set _Z11rank_kernelILj512ELj1ELj4ELb1EL18RadixRankAlgorithm0EtEvPKT4_Pijj.num_named_barrier, 0
	.set _Z11rank_kernelILj512ELj1ELj4ELb1EL18RadixRankAlgorithm0EtEvPKT4_Pijj.private_seg_size, 0
	.set _Z11rank_kernelILj512ELj1ELj4ELb1EL18RadixRankAlgorithm0EtEvPKT4_Pijj.uses_vcc, 1
	.set _Z11rank_kernelILj512ELj1ELj4ELb1EL18RadixRankAlgorithm0EtEvPKT4_Pijj.uses_flat_scratch, 0
	.set _Z11rank_kernelILj512ELj1ELj4ELb1EL18RadixRankAlgorithm0EtEvPKT4_Pijj.has_dyn_sized_stack, 0
	.set _Z11rank_kernelILj512ELj1ELj4ELb1EL18RadixRankAlgorithm0EtEvPKT4_Pijj.has_recursion, 0
	.set _Z11rank_kernelILj512ELj1ELj4ELb1EL18RadixRankAlgorithm0EtEvPKT4_Pijj.has_indirect_call, 0
	.section	.AMDGPU.csdata,"",@progbits
; Kernel info:
; codeLenInByte = 856
; TotalNumSgprs: 14
; NumVgprs: 16
; ScratchSize: 0
; MemoryBound: 0
; FloatMode: 240
; IeeeMode: 1
; LDSByteSize: 16416 bytes/workgroup (compile time only)
; SGPRBlocks: 12
; VGPRBlocks: 9
; NumSGPRsForWavesPerEU: 97
; NumVGPRsForWavesPerEU: 37
; Occupancy: 6
; WaveLimiterHint : 0
; COMPUTE_PGM_RSRC2:SCRATCH_EN: 0
; COMPUTE_PGM_RSRC2:USER_SGPR: 6
; COMPUTE_PGM_RSRC2:TRAP_HANDLER: 0
; COMPUTE_PGM_RSRC2:TGID_X_EN: 1
; COMPUTE_PGM_RSRC2:TGID_Y_EN: 0
; COMPUTE_PGM_RSRC2:TGID_Z_EN: 0
; COMPUTE_PGM_RSRC2:TIDIG_COMP_CNT: 0
	.section	.text._Z11rank_kernelILj256ELj1ELj4ELb0EL18RadixRankAlgorithm0EfEvPKT4_Pijj,"axG",@progbits,_Z11rank_kernelILj256ELj1ELj4ELb0EL18RadixRankAlgorithm0EfEvPKT4_Pijj,comdat
	.protected	_Z11rank_kernelILj256ELj1ELj4ELb0EL18RadixRankAlgorithm0EfEvPKT4_Pijj ; -- Begin function _Z11rank_kernelILj256ELj1ELj4ELb0EL18RadixRankAlgorithm0EfEvPKT4_Pijj
	.globl	_Z11rank_kernelILj256ELj1ELj4ELb0EL18RadixRankAlgorithm0EfEvPKT4_Pijj
	.p2align	8
	.type	_Z11rank_kernelILj256ELj1ELj4ELb0EL18RadixRankAlgorithm0EfEvPKT4_Pijj,@function
_Z11rank_kernelILj256ELj1ELj4ELb0EL18RadixRankAlgorithm0EfEvPKT4_Pijj: ; @_Z11rank_kernelILj256ELj1ELj4ELb0EL18RadixRankAlgorithm0EfEvPKT4_Pijj
; %bb.0:
	s_load_dwordx4 s[0:3], s[4:5], 0x0
	s_lshl_b32 s6, s6, 8
	s_mov_b32 s7, 0
	s_lshl_b64 s[6:7], s[6:7], 2
	v_lshlrev_b32_e32 v1, 2, v0
	s_waitcnt lgkmcnt(0)
	s_add_u32 s0, s0, s6
	s_addc_u32 s1, s1, s7
	global_load_dword v2, v1, s[0:1]
	v_or_b32_e32 v4, 0x400, v0
	s_movk_i32 s8, 0x700
	v_mov_b32_e32 v3, 0
	v_cmp_gt_u32_e32 vcc, s8, v4
	ds_write2st64_b32 v1, v3, v3 offset1:4
	ds_write2st64_b32 v1, v3, v3 offset0:8 offset1:12
	ds_write_b32 v1, v3 offset:4096
	s_and_saveexec_b64 s[0:1], vcc
	s_cbranch_execz .LBB21_4
; %bb.1:
	s_movk_i32 s9, 0x200
	v_cmp_gt_u32_e32 vcc, s9, v0
	ds_write_b32 v1, v3 offset:5120
	s_and_b64 exec, exec, vcc
	s_cbranch_execz .LBB21_4
; %bb.2:
	s_movk_i32 s9, 0x100
	v_mov_b32_e32 v3, 0
	v_cmp_gt_u32_e32 vcc, s9, v0
	ds_write_b32 v1, v3 offset:6144
	s_and_b64 exec, exec, vcc
; %bb.3:
	ds_write_b32 v1, v3 offset:7168
.LBB21_4:
	s_or_b64 exec, exec, s[0:1]
	s_load_dwordx2 s[0:1], s[4:5], 0x10
	v_bfrev_b32_e32 v3, 1
	s_waitcnt vmcnt(0)
	v_cmp_lt_i32_e32 vcc, -1, v2
	v_cndmask_b32_e32 v4, -1, v3, vcc
	v_xor_b32_e32 v2, v4, v2
	s_brev_b32 s4, -2
	s_waitcnt lgkmcnt(0)
	s_and_b32 s1, s1, 31
	s_and_b32 s0, s0, 31
	v_cmp_ne_u32_e32 vcc, s4, v2
	s_add_i32 s0, s0, s1
	v_cndmask_b32_e32 v2, v3, v2, vcc
	s_sub_i32 s0, 32, s0
	v_lshlrev_b32_e32 v2, s0, v2
	s_sub_i32 s0, 32, s1
	s_cmp_lg_u32 s1, 0
	v_lshrrev_b32_e32 v2, s0, v2
	s_cselect_b64 vcc, -1, 0
	v_cndmask_b32_e32 v2, 0, v2, vcc
	v_lshlrev_b32_e32 v3, 8, v2
	v_lshrrev_b32_e32 v2, 2, v2
	v_and_or_b32 v3, v3, s8, v0
	v_and_b32_e32 v2, 0x3ffffffe, v2
	v_lshl_add_u32 v2, v3, 2, v2
	ds_read_u16 v3, v2
	s_waitcnt lgkmcnt(0)
	v_add_u16_e32 v4, 1, v3
	ds_write_b16 v2, v4
	v_mad_u32_u24 v4, v0, 28, v1
	s_waitcnt lgkmcnt(0)
	s_barrier
	ds_read_b128 v[5:8], v4
	ds_read_b128 v[9:12], v4 offset:16
	s_waitcnt lgkmcnt(1)
	v_add_u32_e32 v5, v6, v5
	v_add3_u32 v5, v5, v7, v8
	s_waitcnt lgkmcnt(0)
	v_add3_u32 v5, v5, v9, v10
	v_add3_u32 v6, v5, v11, v12
	v_mbcnt_lo_u32_b32 v5, -1, 0
	v_mbcnt_hi_u32_b32 v5, -1, v5
	v_and_b32_e32 v7, 15, v5
	v_mov_b32_dpp v8, v6 row_shr:1 row_mask:0xf bank_mask:0xf
	v_cmp_ne_u32_e32 vcc, 0, v7
	v_cndmask_b32_e32 v8, 0, v8, vcc
	v_add_u32_e32 v6, v8, v6
	v_cmp_lt_u32_e32 vcc, 1, v7
	s_nop 0
	v_mov_b32_dpp v8, v6 row_shr:2 row_mask:0xf bank_mask:0xf
	v_cndmask_b32_e32 v8, 0, v8, vcc
	v_add_u32_e32 v6, v6, v8
	v_cmp_lt_u32_e32 vcc, 3, v7
	s_nop 0
	v_mov_b32_dpp v8, v6 row_shr:4 row_mask:0xf bank_mask:0xf
	;; [unrolled: 5-line block ×3, first 2 shown]
	v_cndmask_b32_e32 v7, 0, v8, vcc
	v_add_u32_e32 v6, v6, v7
	v_bfe_i32 v8, v5, 4, 1
	v_cmp_lt_u32_e32 vcc, 31, v5
	v_mov_b32_dpp v7, v6 row_bcast:15 row_mask:0xf bank_mask:0xf
	v_and_b32_e32 v7, v8, v7
	v_add_u32_e32 v6, v6, v7
	v_or_b32_e32 v8, 63, v0
	s_nop 0
	v_mov_b32_dpp v7, v6 row_bcast:31 row_mask:0xf bank_mask:0xf
	v_cndmask_b32_e32 v7, 0, v7, vcc
	v_add_u32_e32 v6, v6, v7
	v_lshrrev_b32_e32 v7, 6, v0
	v_cmp_eq_u32_e32 vcc, v0, v8
	v_lshlrev_b32_e32 v7, 2, v7
	s_and_saveexec_b64 s[0:1], vcc
; %bb.5:
	ds_write_b32 v7, v6 offset:8192
; %bb.6:
	s_or_b64 exec, exec, s[0:1]
	v_cmp_gt_u32_e32 vcc, 4, v0
	s_waitcnt lgkmcnt(0)
	s_barrier
	s_and_saveexec_b64 s[0:1], vcc
	s_cbranch_execz .LBB21_8
; %bb.7:
	s_movk_i32 s4, 0xffe4
	v_mad_i32_i24 v8, v0, s4, v4
	ds_read_b32 v9, v8 offset:8192
	v_and_b32_e32 v10, 3, v5
	v_cmp_ne_u32_e32 vcc, 0, v10
	s_waitcnt lgkmcnt(0)
	v_mov_b32_dpp v11, v9 row_shr:1 row_mask:0xf bank_mask:0xf
	v_cndmask_b32_e32 v11, 0, v11, vcc
	v_add_u32_e32 v9, v11, v9
	v_cmp_lt_u32_e32 vcc, 1, v10
	s_nop 0
	v_mov_b32_dpp v11, v9 row_shr:2 row_mask:0xf bank_mask:0xf
	v_cndmask_b32_e32 v10, 0, v11, vcc
	v_add_u32_e32 v9, v9, v10
	ds_write_b32 v8, v9 offset:8192
.LBB21_8:
	s_or_b64 exec, exec, s[0:1]
	v_cmp_lt_u32_e32 vcc, 63, v0
	v_mov_b32_e32 v8, 0
	v_mov_b32_e32 v0, 0
	s_waitcnt lgkmcnt(0)
	s_barrier
	s_and_saveexec_b64 s[0:1], vcc
; %bb.9:
	ds_read_b32 v0, v7 offset:8188
; %bb.10:
	s_or_b64 exec, exec, s[0:1]
	v_subrev_co_u32_e32 v7, vcc, 1, v5
	v_and_b32_e32 v9, 64, v5
	v_cmp_lt_i32_e64 s[0:1], v7, v9
	v_cndmask_b32_e64 v5, v7, v5, s[0:1]
	s_waitcnt lgkmcnt(0)
	v_add_u32_e32 v6, v0, v6
	v_lshlrev_b32_e32 v5, 2, v5
	ds_bpermute_b32 v9, v5, v6
	ds_read_b32 v10, v8 offset:8204
	ds_read_b128 v[5:8], v4
	ds_read_b96 v[13:15], v4 offset:16
	s_add_u32 s0, s2, s6
	s_addc_u32 s1, s3, s7
	s_waitcnt lgkmcnt(3)
	v_cndmask_b32_e32 v0, v9, v0, vcc
	s_waitcnt lgkmcnt(2)
	v_lshl_add_u32 v9, v10, 16, v0
	s_waitcnt lgkmcnt(1)
	v_add_u32_e32 v10, v9, v5
	v_add_u32_e32 v11, v6, v10
	;; [unrolled: 1-line block ×4, first 2 shown]
	s_waitcnt lgkmcnt(0)
	v_add_u32_e32 v6, v13, v5
	v_add_u32_e32 v7, v14, v6
	;; [unrolled: 1-line block ×3, first 2 shown]
	ds_write_b128 v4, v[9:12]
	ds_write_b128 v4, v[5:8] offset:16
	s_waitcnt lgkmcnt(0)
	s_barrier
	ds_read_u16 v0, v2
	s_waitcnt lgkmcnt(0)
	v_add_u32_sdwa v0, v0, v3 dst_sel:DWORD dst_unused:UNUSED_PAD src0_sel:DWORD src1_sel:WORD_0
	global_store_dword v1, v0, s[0:1]
	s_endpgm
	.section	.rodata,"a",@progbits
	.p2align	6, 0x0
	.amdhsa_kernel _Z11rank_kernelILj256ELj1ELj4ELb0EL18RadixRankAlgorithm0EfEvPKT4_Pijj
		.amdhsa_group_segment_fixed_size 8208
		.amdhsa_private_segment_fixed_size 0
		.amdhsa_kernarg_size 24
		.amdhsa_user_sgpr_count 6
		.amdhsa_user_sgpr_private_segment_buffer 1
		.amdhsa_user_sgpr_dispatch_ptr 0
		.amdhsa_user_sgpr_queue_ptr 0
		.amdhsa_user_sgpr_kernarg_segment_ptr 1
		.amdhsa_user_sgpr_dispatch_id 0
		.amdhsa_user_sgpr_flat_scratch_init 0
		.amdhsa_user_sgpr_private_segment_size 0
		.amdhsa_uses_dynamic_stack 0
		.amdhsa_system_sgpr_private_segment_wavefront_offset 0
		.amdhsa_system_sgpr_workgroup_id_x 1
		.amdhsa_system_sgpr_workgroup_id_y 0
		.amdhsa_system_sgpr_workgroup_id_z 0
		.amdhsa_system_sgpr_workgroup_info 0
		.amdhsa_system_vgpr_workitem_id 0
		.amdhsa_next_free_vgpr 33
		.amdhsa_next_free_sgpr 77
		.amdhsa_reserve_vcc 1
		.amdhsa_reserve_flat_scratch 0
		.amdhsa_float_round_mode_32 0
		.amdhsa_float_round_mode_16_64 0
		.amdhsa_float_denorm_mode_32 3
		.amdhsa_float_denorm_mode_16_64 3
		.amdhsa_dx10_clamp 1
		.amdhsa_ieee_mode 1
		.amdhsa_fp16_overflow 0
		.amdhsa_exception_fp_ieee_invalid_op 0
		.amdhsa_exception_fp_denorm_src 0
		.amdhsa_exception_fp_ieee_div_zero 0
		.amdhsa_exception_fp_ieee_overflow 0
		.amdhsa_exception_fp_ieee_underflow 0
		.amdhsa_exception_fp_ieee_inexact 0
		.amdhsa_exception_int_div_zero 0
	.end_amdhsa_kernel
	.section	.text._Z11rank_kernelILj256ELj1ELj4ELb0EL18RadixRankAlgorithm0EfEvPKT4_Pijj,"axG",@progbits,_Z11rank_kernelILj256ELj1ELj4ELb0EL18RadixRankAlgorithm0EfEvPKT4_Pijj,comdat
.Lfunc_end21:
	.size	_Z11rank_kernelILj256ELj1ELj4ELb0EL18RadixRankAlgorithm0EfEvPKT4_Pijj, .Lfunc_end21-_Z11rank_kernelILj256ELj1ELj4ELb0EL18RadixRankAlgorithm0EfEvPKT4_Pijj
                                        ; -- End function
	.set _Z11rank_kernelILj256ELj1ELj4ELb0EL18RadixRankAlgorithm0EfEvPKT4_Pijj.num_vgpr, 16
	.set _Z11rank_kernelILj256ELj1ELj4ELb0EL18RadixRankAlgorithm0EfEvPKT4_Pijj.num_agpr, 0
	.set _Z11rank_kernelILj256ELj1ELj4ELb0EL18RadixRankAlgorithm0EfEvPKT4_Pijj.numbered_sgpr, 10
	.set _Z11rank_kernelILj256ELj1ELj4ELb0EL18RadixRankAlgorithm0EfEvPKT4_Pijj.num_named_barrier, 0
	.set _Z11rank_kernelILj256ELj1ELj4ELb0EL18RadixRankAlgorithm0EfEvPKT4_Pijj.private_seg_size, 0
	.set _Z11rank_kernelILj256ELj1ELj4ELb0EL18RadixRankAlgorithm0EfEvPKT4_Pijj.uses_vcc, 1
	.set _Z11rank_kernelILj256ELj1ELj4ELb0EL18RadixRankAlgorithm0EfEvPKT4_Pijj.uses_flat_scratch, 0
	.set _Z11rank_kernelILj256ELj1ELj4ELb0EL18RadixRankAlgorithm0EfEvPKT4_Pijj.has_dyn_sized_stack, 0
	.set _Z11rank_kernelILj256ELj1ELj4ELb0EL18RadixRankAlgorithm0EfEvPKT4_Pijj.has_recursion, 0
	.set _Z11rank_kernelILj256ELj1ELj4ELb0EL18RadixRankAlgorithm0EfEvPKT4_Pijj.has_indirect_call, 0
	.section	.AMDGPU.csdata,"",@progbits
; Kernel info:
; codeLenInByte = 884
; TotalNumSgprs: 14
; NumVgprs: 16
; ScratchSize: 0
; MemoryBound: 0
; FloatMode: 240
; IeeeMode: 1
; LDSByteSize: 8208 bytes/workgroup (compile time only)
; SGPRBlocks: 10
; VGPRBlocks: 8
; NumSGPRsForWavesPerEU: 81
; NumVGPRsForWavesPerEU: 33
; Occupancy: 7
; WaveLimiterHint : 0
; COMPUTE_PGM_RSRC2:SCRATCH_EN: 0
; COMPUTE_PGM_RSRC2:USER_SGPR: 6
; COMPUTE_PGM_RSRC2:TRAP_HANDLER: 0
; COMPUTE_PGM_RSRC2:TGID_X_EN: 1
; COMPUTE_PGM_RSRC2:TGID_Y_EN: 0
; COMPUTE_PGM_RSRC2:TGID_Z_EN: 0
; COMPUTE_PGM_RSRC2:TIDIG_COMP_CNT: 0
	.section	.text._Z11rank_kernelILj128ELj1ELj4ELb0EL18RadixRankAlgorithm0E12hip_bfloat16EvPKT4_Pijj,"axG",@progbits,_Z11rank_kernelILj128ELj1ELj4ELb0EL18RadixRankAlgorithm0E12hip_bfloat16EvPKT4_Pijj,comdat
	.protected	_Z11rank_kernelILj128ELj1ELj4ELb0EL18RadixRankAlgorithm0E12hip_bfloat16EvPKT4_Pijj ; -- Begin function _Z11rank_kernelILj128ELj1ELj4ELb0EL18RadixRankAlgorithm0E12hip_bfloat16EvPKT4_Pijj
	.globl	_Z11rank_kernelILj128ELj1ELj4ELb0EL18RadixRankAlgorithm0E12hip_bfloat16EvPKT4_Pijj
	.p2align	8
	.type	_Z11rank_kernelILj128ELj1ELj4ELb0EL18RadixRankAlgorithm0E12hip_bfloat16EvPKT4_Pijj,@function
_Z11rank_kernelILj128ELj1ELj4ELb0EL18RadixRankAlgorithm0E12hip_bfloat16EvPKT4_Pijj: ; @_Z11rank_kernelILj128ELj1ELj4ELb0EL18RadixRankAlgorithm0E12hip_bfloat16EvPKT4_Pijj
; %bb.0:
	s_load_dwordx4 s[0:3], s[4:5], 0x0
	s_lshl_b32 s6, s6, 7
	s_mov_b32 s7, 0
	s_lshl_b64 s[8:9], s[6:7], 1
	v_lshlrev_b32_e32 v1, 1, v0
	s_waitcnt lgkmcnt(0)
	s_add_u32 s0, s0, s8
	s_addc_u32 s1, s1, s9
	global_load_ushort v2, v1, s[0:1]
	s_movk_i32 s8, 0x380
	v_mov_b32_e32 v3, 0
	v_lshlrev_b32_e32 v1, 2, v0
	v_cmp_gt_u32_e32 vcc, s8, v0
	ds_write_b32 v1, v3
	s_and_saveexec_b64 s[0:1], vcc
	s_cbranch_execz .LBB22_8
; %bb.1:
	s_movk_i32 s9, 0x300
	v_cmp_gt_u32_e32 vcc, s9, v0
	ds_write_b32 v1, v3 offset:512
	s_and_b64 exec, exec, vcc
	s_cbranch_execz .LBB22_8
; %bb.2:
	s_movk_i32 s9, 0x280
	v_mov_b32_e32 v3, 0
	v_cmp_gt_u32_e32 vcc, s9, v0
	ds_write_b32 v1, v3 offset:1024
	s_and_b64 exec, exec, vcc
	s_cbranch_execz .LBB22_8
; %bb.3:
	s_movk_i32 s9, 0x200
	v_cmp_gt_u32_e32 vcc, s9, v0
	ds_write_b32 v1, v3 offset:1536
	s_and_b64 exec, exec, vcc
	s_cbranch_execz .LBB22_8
; %bb.4:
	s_movk_i32 s9, 0x180
	v_mov_b32_e32 v3, 0
	v_cmp_gt_u32_e32 vcc, s9, v0
	ds_write_b32 v1, v3 offset:2048
	s_and_b64 exec, exec, vcc
	;; [unrolled: 13-line block ×3, first 2 shown]
; %bb.7:
	ds_write_b32 v1, v3 offset:3584
.LBB22_8:
	s_or_b64 exec, exec, s[0:1]
	s_load_dwordx2 s[0:1], s[4:5], 0x10
	v_mov_b32_e32 v3, 0xffff8000
	s_waitcnt vmcnt(0)
	v_cmp_lt_i16_e32 vcc, -1, v2
	v_cndmask_b32_e32 v4, -1, v3, vcc
	v_xor_b32_e32 v2, v4, v2
	s_waitcnt lgkmcnt(0)
	s_and_b32 s1, s1, 31
	s_and_b32 s0, s0, 31
	s_movk_i32 s5, 0x7fff
	s_add_i32 s0, s0, s1
	v_cmp_ne_u16_e32 vcc, s5, v2
	s_sub_i32 s0, 32, s0
	s_sub_i32 s4, 32, s1
	v_cndmask_b32_e32 v2, v3, v2, vcc
	v_lshlrev_b32_sdwa v2, s0, v2 dst_sel:DWORD dst_unused:UNUSED_PAD src0_sel:DWORD src1_sel:WORD_0
	s_cmp_lg_u32 s1, 0
	v_bfe_u32 v2, v2, s4, 16
	s_cselect_b64 vcc, -1, 0
	v_cndmask_b32_e32 v2, 0, v2, vcc
	v_lshlrev_b32_e32 v3, 7, v2
	v_lshrrev_b32_e32 v2, 2, v2
	v_and_or_b32 v3, v3, s8, v0
	v_and_b32_e32 v2, 0x3ffe, v2
	v_lshl_add_u32 v2, v3, 2, v2
	ds_read_u16 v3, v2
	s_waitcnt lgkmcnt(0)
	v_add_u16_e32 v4, 1, v3
	ds_write_b16 v2, v4
	v_mad_u32_u24 v4, v0, 28, v1
	s_waitcnt lgkmcnt(0)
	s_barrier
	ds_read_b128 v[5:8], v4
	ds_read_b128 v[9:12], v4 offset:16
	s_waitcnt lgkmcnt(1)
	v_add_u32_e32 v5, v6, v5
	v_add3_u32 v5, v5, v7, v8
	s_waitcnt lgkmcnt(0)
	v_add3_u32 v5, v5, v9, v10
	v_add3_u32 v6, v5, v11, v12
	v_mbcnt_lo_u32_b32 v5, -1, 0
	v_mbcnt_hi_u32_b32 v5, -1, v5
	v_and_b32_e32 v7, 15, v5
	v_mov_b32_dpp v8, v6 row_shr:1 row_mask:0xf bank_mask:0xf
	v_cmp_ne_u32_e32 vcc, 0, v7
	v_cndmask_b32_e32 v8, 0, v8, vcc
	v_add_u32_e32 v6, v8, v6
	v_cmp_lt_u32_e32 vcc, 1, v7
	s_nop 0
	v_mov_b32_dpp v8, v6 row_shr:2 row_mask:0xf bank_mask:0xf
	v_cndmask_b32_e32 v8, 0, v8, vcc
	v_add_u32_e32 v6, v6, v8
	v_cmp_lt_u32_e32 vcc, 3, v7
	s_nop 0
	v_mov_b32_dpp v8, v6 row_shr:4 row_mask:0xf bank_mask:0xf
	v_cndmask_b32_e32 v8, 0, v8, vcc
	v_add_u32_e32 v6, v6, v8
	v_cmp_lt_u32_e32 vcc, 7, v7
	s_nop 0
	v_mov_b32_dpp v8, v6 row_shr:8 row_mask:0xf bank_mask:0xf
	v_cndmask_b32_e32 v7, 0, v8, vcc
	v_add_u32_e32 v6, v6, v7
	v_bfe_i32 v8, v5, 4, 1
	v_cmp_lt_u32_e32 vcc, 31, v5
	v_mov_b32_dpp v7, v6 row_bcast:15 row_mask:0xf bank_mask:0xf
	v_and_b32_e32 v7, v8, v7
	v_add_u32_e32 v6, v6, v7
	v_or_b32_e32 v8, 63, v0
	s_nop 0
	v_mov_b32_dpp v7, v6 row_bcast:31 row_mask:0xf bank_mask:0xf
	v_cndmask_b32_e32 v7, 0, v7, vcc
	v_add_u32_e32 v6, v6, v7
	v_lshrrev_b32_e32 v7, 6, v0
	v_cmp_eq_u32_e32 vcc, v0, v8
	v_lshlrev_b32_e32 v7, 2, v7
	s_and_saveexec_b64 s[0:1], vcc
; %bb.9:
	ds_write_b32 v7, v6 offset:4096
; %bb.10:
	s_or_b64 exec, exec, s[0:1]
	v_cmp_gt_u32_e32 vcc, 2, v0
	s_waitcnt lgkmcnt(0)
	s_barrier
	s_and_saveexec_b64 s[0:1], vcc
	s_cbranch_execz .LBB22_12
; %bb.11:
	s_movk_i32 s4, 0xffe4
	v_mad_i32_i24 v8, v0, s4, v4
	ds_read_b32 v9, v8 offset:4096
	v_bfe_i32 v10, v5, 0, 1
	s_waitcnt lgkmcnt(0)
	v_mov_b32_dpp v11, v9 row_shr:1 row_mask:0xf bank_mask:0xf
	v_and_b32_e32 v10, v10, v11
	v_add_u32_e32 v9, v10, v9
	ds_write_b32 v8, v9 offset:4096
.LBB22_12:
	s_or_b64 exec, exec, s[0:1]
	v_cmp_lt_u32_e32 vcc, 63, v0
	v_mov_b32_e32 v8, 0
	v_mov_b32_e32 v0, 0
	s_waitcnt lgkmcnt(0)
	s_barrier
	s_and_saveexec_b64 s[0:1], vcc
; %bb.13:
	ds_read_b32 v0, v7 offset:4092
; %bb.14:
	s_or_b64 exec, exec, s[0:1]
	v_subrev_co_u32_e32 v7, vcc, 1, v5
	v_and_b32_e32 v9, 64, v5
	v_cmp_lt_i32_e64 s[0:1], v7, v9
	v_cndmask_b32_e64 v5, v7, v5, s[0:1]
	s_waitcnt lgkmcnt(0)
	v_add_u32_e32 v6, v0, v6
	v_lshlrev_b32_e32 v5, 2, v5
	ds_bpermute_b32 v9, v5, v6
	ds_read_b32 v10, v8 offset:4100
	ds_read_b128 v[5:8], v4
	ds_read_b96 v[13:15], v4 offset:16
	s_lshl_b64 s[0:1], s[6:7], 2
	s_add_u32 s0, s2, s0
	s_waitcnt lgkmcnt(3)
	v_cndmask_b32_e32 v0, v9, v0, vcc
	s_waitcnt lgkmcnt(2)
	v_lshl_add_u32 v9, v10, 16, v0
	s_waitcnt lgkmcnt(1)
	v_add_u32_e32 v10, v9, v5
	v_add_u32_e32 v11, v6, v10
	;; [unrolled: 1-line block ×4, first 2 shown]
	s_waitcnt lgkmcnt(0)
	v_add_u32_e32 v6, v13, v5
	v_add_u32_e32 v7, v14, v6
	;; [unrolled: 1-line block ×3, first 2 shown]
	ds_write_b128 v4, v[9:12]
	ds_write_b128 v4, v[5:8] offset:16
	s_waitcnt lgkmcnt(0)
	s_barrier
	ds_read_u16 v0, v2
	s_addc_u32 s1, s3, s1
	s_waitcnt lgkmcnt(0)
	v_add_u32_sdwa v0, v0, v3 dst_sel:DWORD dst_unused:UNUSED_PAD src0_sel:DWORD src1_sel:WORD_0
	global_store_dword v1, v0, s[0:1]
	s_endpgm
	.section	.rodata,"a",@progbits
	.p2align	6, 0x0
	.amdhsa_kernel _Z11rank_kernelILj128ELj1ELj4ELb0EL18RadixRankAlgorithm0E12hip_bfloat16EvPKT4_Pijj
		.amdhsa_group_segment_fixed_size 4112
		.amdhsa_private_segment_fixed_size 0
		.amdhsa_kernarg_size 24
		.amdhsa_user_sgpr_count 6
		.amdhsa_user_sgpr_private_segment_buffer 1
		.amdhsa_user_sgpr_dispatch_ptr 0
		.amdhsa_user_sgpr_queue_ptr 0
		.amdhsa_user_sgpr_kernarg_segment_ptr 1
		.amdhsa_user_sgpr_dispatch_id 0
		.amdhsa_user_sgpr_flat_scratch_init 0
		.amdhsa_user_sgpr_private_segment_size 0
		.amdhsa_uses_dynamic_stack 0
		.amdhsa_system_sgpr_private_segment_wavefront_offset 0
		.amdhsa_system_sgpr_workgroup_id_x 1
		.amdhsa_system_sgpr_workgroup_id_y 0
		.amdhsa_system_sgpr_workgroup_id_z 0
		.amdhsa_system_sgpr_workgroup_info 0
		.amdhsa_system_vgpr_workitem_id 0
		.amdhsa_next_free_vgpr 29
		.amdhsa_next_free_sgpr 61
		.amdhsa_reserve_vcc 1
		.amdhsa_reserve_flat_scratch 0
		.amdhsa_float_round_mode_32 0
		.amdhsa_float_round_mode_16_64 0
		.amdhsa_float_denorm_mode_32 3
		.amdhsa_float_denorm_mode_16_64 3
		.amdhsa_dx10_clamp 1
		.amdhsa_ieee_mode 1
		.amdhsa_fp16_overflow 0
		.amdhsa_exception_fp_ieee_invalid_op 0
		.amdhsa_exception_fp_denorm_src 0
		.amdhsa_exception_fp_ieee_div_zero 0
		.amdhsa_exception_fp_ieee_overflow 0
		.amdhsa_exception_fp_ieee_underflow 0
		.amdhsa_exception_fp_ieee_inexact 0
		.amdhsa_exception_int_div_zero 0
	.end_amdhsa_kernel
	.section	.text._Z11rank_kernelILj128ELj1ELj4ELb0EL18RadixRankAlgorithm0E12hip_bfloat16EvPKT4_Pijj,"axG",@progbits,_Z11rank_kernelILj128ELj1ELj4ELb0EL18RadixRankAlgorithm0E12hip_bfloat16EvPKT4_Pijj,comdat
.Lfunc_end22:
	.size	_Z11rank_kernelILj128ELj1ELj4ELb0EL18RadixRankAlgorithm0E12hip_bfloat16EvPKT4_Pijj, .Lfunc_end22-_Z11rank_kernelILj128ELj1ELj4ELb0EL18RadixRankAlgorithm0E12hip_bfloat16EvPKT4_Pijj
                                        ; -- End function
	.set _Z11rank_kernelILj128ELj1ELj4ELb0EL18RadixRankAlgorithm0E12hip_bfloat16EvPKT4_Pijj.num_vgpr, 16
	.set _Z11rank_kernelILj128ELj1ELj4ELb0EL18RadixRankAlgorithm0E12hip_bfloat16EvPKT4_Pijj.num_agpr, 0
	.set _Z11rank_kernelILj128ELj1ELj4ELb0EL18RadixRankAlgorithm0E12hip_bfloat16EvPKT4_Pijj.numbered_sgpr, 10
	.set _Z11rank_kernelILj128ELj1ELj4ELb0EL18RadixRankAlgorithm0E12hip_bfloat16EvPKT4_Pijj.num_named_barrier, 0
	.set _Z11rank_kernelILj128ELj1ELj4ELb0EL18RadixRankAlgorithm0E12hip_bfloat16EvPKT4_Pijj.private_seg_size, 0
	.set _Z11rank_kernelILj128ELj1ELj4ELb0EL18RadixRankAlgorithm0E12hip_bfloat16EvPKT4_Pijj.uses_vcc, 1
	.set _Z11rank_kernelILj128ELj1ELj4ELb0EL18RadixRankAlgorithm0E12hip_bfloat16EvPKT4_Pijj.uses_flat_scratch, 0
	.set _Z11rank_kernelILj128ELj1ELj4ELb0EL18RadixRankAlgorithm0E12hip_bfloat16EvPKT4_Pijj.has_dyn_sized_stack, 0
	.set _Z11rank_kernelILj128ELj1ELj4ELb0EL18RadixRankAlgorithm0E12hip_bfloat16EvPKT4_Pijj.has_recursion, 0
	.set _Z11rank_kernelILj128ELj1ELj4ELb0EL18RadixRankAlgorithm0E12hip_bfloat16EvPKT4_Pijj.has_indirect_call, 0
	.section	.AMDGPU.csdata,"",@progbits
; Kernel info:
; codeLenInByte = 960
; TotalNumSgprs: 14
; NumVgprs: 16
; ScratchSize: 0
; MemoryBound: 0
; FloatMode: 240
; IeeeMode: 1
; LDSByteSize: 4112 bytes/workgroup (compile time only)
; SGPRBlocks: 8
; VGPRBlocks: 7
; NumSGPRsForWavesPerEU: 65
; NumVGPRsForWavesPerEU: 29
; Occupancy: 8
; WaveLimiterHint : 0
; COMPUTE_PGM_RSRC2:SCRATCH_EN: 0
; COMPUTE_PGM_RSRC2:USER_SGPR: 6
; COMPUTE_PGM_RSRC2:TRAP_HANDLER: 0
; COMPUTE_PGM_RSRC2:TGID_X_EN: 1
; COMPUTE_PGM_RSRC2:TGID_Y_EN: 0
; COMPUTE_PGM_RSRC2:TGID_Z_EN: 0
; COMPUTE_PGM_RSRC2:TIDIG_COMP_CNT: 0
	.section	.text._Z11rank_kernelILj128ELj1ELj4ELb0EL18RadixRankAlgorithm0E6__halfEvPKT4_Pijj,"axG",@progbits,_Z11rank_kernelILj128ELj1ELj4ELb0EL18RadixRankAlgorithm0E6__halfEvPKT4_Pijj,comdat
	.protected	_Z11rank_kernelILj128ELj1ELj4ELb0EL18RadixRankAlgorithm0E6__halfEvPKT4_Pijj ; -- Begin function _Z11rank_kernelILj128ELj1ELj4ELb0EL18RadixRankAlgorithm0E6__halfEvPKT4_Pijj
	.globl	_Z11rank_kernelILj128ELj1ELj4ELb0EL18RadixRankAlgorithm0E6__halfEvPKT4_Pijj
	.p2align	8
	.type	_Z11rank_kernelILj128ELj1ELj4ELb0EL18RadixRankAlgorithm0E6__halfEvPKT4_Pijj,@function
_Z11rank_kernelILj128ELj1ELj4ELb0EL18RadixRankAlgorithm0E6__halfEvPKT4_Pijj: ; @_Z11rank_kernelILj128ELj1ELj4ELb0EL18RadixRankAlgorithm0E6__halfEvPKT4_Pijj
; %bb.0:
	s_load_dwordx4 s[0:3], s[4:5], 0x0
	s_lshl_b32 s6, s6, 7
	s_mov_b32 s7, 0
	s_lshl_b64 s[8:9], s[6:7], 1
	v_lshlrev_b32_e32 v1, 1, v0
	s_waitcnt lgkmcnt(0)
	s_add_u32 s0, s0, s8
	s_addc_u32 s1, s1, s9
	global_load_ushort v2, v1, s[0:1]
	s_movk_i32 s8, 0x380
	v_mov_b32_e32 v3, 0
	v_lshlrev_b32_e32 v1, 2, v0
	v_cmp_gt_u32_e32 vcc, s8, v0
	ds_write_b32 v1, v3
	s_and_saveexec_b64 s[0:1], vcc
	s_cbranch_execz .LBB23_8
; %bb.1:
	s_movk_i32 s9, 0x300
	v_cmp_gt_u32_e32 vcc, s9, v0
	ds_write_b32 v1, v3 offset:512
	s_and_b64 exec, exec, vcc
	s_cbranch_execz .LBB23_8
; %bb.2:
	s_movk_i32 s9, 0x280
	v_mov_b32_e32 v3, 0
	v_cmp_gt_u32_e32 vcc, s9, v0
	ds_write_b32 v1, v3 offset:1024
	s_and_b64 exec, exec, vcc
	s_cbranch_execz .LBB23_8
; %bb.3:
	s_movk_i32 s9, 0x200
	v_cmp_gt_u32_e32 vcc, s9, v0
	ds_write_b32 v1, v3 offset:1536
	s_and_b64 exec, exec, vcc
	s_cbranch_execz .LBB23_8
; %bb.4:
	s_movk_i32 s9, 0x180
	v_mov_b32_e32 v3, 0
	v_cmp_gt_u32_e32 vcc, s9, v0
	ds_write_b32 v1, v3 offset:2048
	s_and_b64 exec, exec, vcc
	s_cbranch_execz .LBB23_8
; %bb.5:
	s_movk_i32 s9, 0x100
	v_cmp_gt_u32_e32 vcc, s9, v0
	ds_write_b32 v1, v3 offset:2560
	s_and_b64 exec, exec, vcc
	s_cbranch_execz .LBB23_8
; %bb.6:
	s_movk_i32 s9, 0x80
	v_mov_b32_e32 v3, 0
	v_cmp_gt_u32_e32 vcc, s9, v0
	ds_write_b32 v1, v3 offset:3072
	s_and_b64 exec, exec, vcc
; %bb.7:
	ds_write_b32 v1, v3 offset:3584
.LBB23_8:
	s_or_b64 exec, exec, s[0:1]
	s_load_dwordx2 s[0:1], s[4:5], 0x10
	v_mov_b32_e32 v3, 0xffff8000
	s_waitcnt vmcnt(0)
	v_cmp_lt_i16_e32 vcc, -1, v2
	v_cndmask_b32_e32 v4, -1, v3, vcc
	v_xor_b32_e32 v2, v4, v2
	s_waitcnt lgkmcnt(0)
	s_and_b32 s1, s1, 31
	s_and_b32 s0, s0, 31
	s_movk_i32 s5, 0x7fff
	s_add_i32 s0, s0, s1
	v_cmp_ne_u16_e32 vcc, s5, v2
	s_sub_i32 s0, 32, s0
	s_sub_i32 s4, 32, s1
	v_cndmask_b32_e32 v2, v3, v2, vcc
	v_lshlrev_b32_sdwa v2, s0, v2 dst_sel:DWORD dst_unused:UNUSED_PAD src0_sel:DWORD src1_sel:WORD_0
	s_cmp_lg_u32 s1, 0
	v_bfe_u32 v2, v2, s4, 16
	s_cselect_b64 vcc, -1, 0
	v_cndmask_b32_e32 v2, 0, v2, vcc
	v_lshlrev_b32_e32 v3, 7, v2
	v_lshrrev_b32_e32 v2, 2, v2
	v_and_or_b32 v3, v3, s8, v0
	v_and_b32_e32 v2, 0x3ffe, v2
	v_lshl_add_u32 v2, v3, 2, v2
	ds_read_u16 v3, v2
	s_waitcnt lgkmcnt(0)
	v_add_u16_e32 v4, 1, v3
	ds_write_b16 v2, v4
	v_mad_u32_u24 v4, v0, 28, v1
	s_waitcnt lgkmcnt(0)
	s_barrier
	ds_read_b128 v[5:8], v4
	ds_read_b128 v[9:12], v4 offset:16
	s_waitcnt lgkmcnt(1)
	v_add_u32_e32 v5, v6, v5
	v_add3_u32 v5, v5, v7, v8
	s_waitcnt lgkmcnt(0)
	v_add3_u32 v5, v5, v9, v10
	v_add3_u32 v6, v5, v11, v12
	v_mbcnt_lo_u32_b32 v5, -1, 0
	v_mbcnt_hi_u32_b32 v5, -1, v5
	v_and_b32_e32 v7, 15, v5
	v_mov_b32_dpp v8, v6 row_shr:1 row_mask:0xf bank_mask:0xf
	v_cmp_ne_u32_e32 vcc, 0, v7
	v_cndmask_b32_e32 v8, 0, v8, vcc
	v_add_u32_e32 v6, v8, v6
	v_cmp_lt_u32_e32 vcc, 1, v7
	s_nop 0
	v_mov_b32_dpp v8, v6 row_shr:2 row_mask:0xf bank_mask:0xf
	v_cndmask_b32_e32 v8, 0, v8, vcc
	v_add_u32_e32 v6, v6, v8
	v_cmp_lt_u32_e32 vcc, 3, v7
	s_nop 0
	v_mov_b32_dpp v8, v6 row_shr:4 row_mask:0xf bank_mask:0xf
	;; [unrolled: 5-line block ×3, first 2 shown]
	v_cndmask_b32_e32 v7, 0, v8, vcc
	v_add_u32_e32 v6, v6, v7
	v_bfe_i32 v8, v5, 4, 1
	v_cmp_lt_u32_e32 vcc, 31, v5
	v_mov_b32_dpp v7, v6 row_bcast:15 row_mask:0xf bank_mask:0xf
	v_and_b32_e32 v7, v8, v7
	v_add_u32_e32 v6, v6, v7
	v_or_b32_e32 v8, 63, v0
	s_nop 0
	v_mov_b32_dpp v7, v6 row_bcast:31 row_mask:0xf bank_mask:0xf
	v_cndmask_b32_e32 v7, 0, v7, vcc
	v_add_u32_e32 v6, v6, v7
	v_lshrrev_b32_e32 v7, 6, v0
	v_cmp_eq_u32_e32 vcc, v0, v8
	v_lshlrev_b32_e32 v7, 2, v7
	s_and_saveexec_b64 s[0:1], vcc
; %bb.9:
	ds_write_b32 v7, v6 offset:4096
; %bb.10:
	s_or_b64 exec, exec, s[0:1]
	v_cmp_gt_u32_e32 vcc, 2, v0
	s_waitcnt lgkmcnt(0)
	s_barrier
	s_and_saveexec_b64 s[0:1], vcc
	s_cbranch_execz .LBB23_12
; %bb.11:
	s_movk_i32 s4, 0xffe4
	v_mad_i32_i24 v8, v0, s4, v4
	ds_read_b32 v9, v8 offset:4096
	v_bfe_i32 v10, v5, 0, 1
	s_waitcnt lgkmcnt(0)
	v_mov_b32_dpp v11, v9 row_shr:1 row_mask:0xf bank_mask:0xf
	v_and_b32_e32 v10, v10, v11
	v_add_u32_e32 v9, v10, v9
	ds_write_b32 v8, v9 offset:4096
.LBB23_12:
	s_or_b64 exec, exec, s[0:1]
	v_cmp_lt_u32_e32 vcc, 63, v0
	v_mov_b32_e32 v8, 0
	v_mov_b32_e32 v0, 0
	s_waitcnt lgkmcnt(0)
	s_barrier
	s_and_saveexec_b64 s[0:1], vcc
; %bb.13:
	ds_read_b32 v0, v7 offset:4092
; %bb.14:
	s_or_b64 exec, exec, s[0:1]
	v_subrev_co_u32_e32 v7, vcc, 1, v5
	v_and_b32_e32 v9, 64, v5
	v_cmp_lt_i32_e64 s[0:1], v7, v9
	v_cndmask_b32_e64 v5, v7, v5, s[0:1]
	s_waitcnt lgkmcnt(0)
	v_add_u32_e32 v6, v0, v6
	v_lshlrev_b32_e32 v5, 2, v5
	ds_bpermute_b32 v9, v5, v6
	ds_read_b32 v10, v8 offset:4100
	ds_read_b128 v[5:8], v4
	ds_read_b96 v[13:15], v4 offset:16
	s_lshl_b64 s[0:1], s[6:7], 2
	s_add_u32 s0, s2, s0
	s_waitcnt lgkmcnt(3)
	v_cndmask_b32_e32 v0, v9, v0, vcc
	s_waitcnt lgkmcnt(2)
	v_lshl_add_u32 v9, v10, 16, v0
	s_waitcnt lgkmcnt(1)
	v_add_u32_e32 v10, v9, v5
	v_add_u32_e32 v11, v6, v10
	v_add_u32_e32 v12, v7, v11
	v_add_u32_e32 v5, v8, v12
	s_waitcnt lgkmcnt(0)
	v_add_u32_e32 v6, v13, v5
	v_add_u32_e32 v7, v14, v6
	v_add_u32_e32 v8, v15, v7
	ds_write_b128 v4, v[9:12]
	ds_write_b128 v4, v[5:8] offset:16
	s_waitcnt lgkmcnt(0)
	s_barrier
	ds_read_u16 v0, v2
	s_addc_u32 s1, s3, s1
	s_waitcnt lgkmcnt(0)
	v_add_u32_sdwa v0, v0, v3 dst_sel:DWORD dst_unused:UNUSED_PAD src0_sel:DWORD src1_sel:WORD_0
	global_store_dword v1, v0, s[0:1]
	s_endpgm
	.section	.rodata,"a",@progbits
	.p2align	6, 0x0
	.amdhsa_kernel _Z11rank_kernelILj128ELj1ELj4ELb0EL18RadixRankAlgorithm0E6__halfEvPKT4_Pijj
		.amdhsa_group_segment_fixed_size 4112
		.amdhsa_private_segment_fixed_size 0
		.amdhsa_kernarg_size 24
		.amdhsa_user_sgpr_count 6
		.amdhsa_user_sgpr_private_segment_buffer 1
		.amdhsa_user_sgpr_dispatch_ptr 0
		.amdhsa_user_sgpr_queue_ptr 0
		.amdhsa_user_sgpr_kernarg_segment_ptr 1
		.amdhsa_user_sgpr_dispatch_id 0
		.amdhsa_user_sgpr_flat_scratch_init 0
		.amdhsa_user_sgpr_private_segment_size 0
		.amdhsa_uses_dynamic_stack 0
		.amdhsa_system_sgpr_private_segment_wavefront_offset 0
		.amdhsa_system_sgpr_workgroup_id_x 1
		.amdhsa_system_sgpr_workgroup_id_y 0
		.amdhsa_system_sgpr_workgroup_id_z 0
		.amdhsa_system_sgpr_workgroup_info 0
		.amdhsa_system_vgpr_workitem_id 0
		.amdhsa_next_free_vgpr 29
		.amdhsa_next_free_sgpr 61
		.amdhsa_reserve_vcc 1
		.amdhsa_reserve_flat_scratch 0
		.amdhsa_float_round_mode_32 0
		.amdhsa_float_round_mode_16_64 0
		.amdhsa_float_denorm_mode_32 3
		.amdhsa_float_denorm_mode_16_64 3
		.amdhsa_dx10_clamp 1
		.amdhsa_ieee_mode 1
		.amdhsa_fp16_overflow 0
		.amdhsa_exception_fp_ieee_invalid_op 0
		.amdhsa_exception_fp_denorm_src 0
		.amdhsa_exception_fp_ieee_div_zero 0
		.amdhsa_exception_fp_ieee_overflow 0
		.amdhsa_exception_fp_ieee_underflow 0
		.amdhsa_exception_fp_ieee_inexact 0
		.amdhsa_exception_int_div_zero 0
	.end_amdhsa_kernel
	.section	.text._Z11rank_kernelILj128ELj1ELj4ELb0EL18RadixRankAlgorithm0E6__halfEvPKT4_Pijj,"axG",@progbits,_Z11rank_kernelILj128ELj1ELj4ELb0EL18RadixRankAlgorithm0E6__halfEvPKT4_Pijj,comdat
.Lfunc_end23:
	.size	_Z11rank_kernelILj128ELj1ELj4ELb0EL18RadixRankAlgorithm0E6__halfEvPKT4_Pijj, .Lfunc_end23-_Z11rank_kernelILj128ELj1ELj4ELb0EL18RadixRankAlgorithm0E6__halfEvPKT4_Pijj
                                        ; -- End function
	.set _Z11rank_kernelILj128ELj1ELj4ELb0EL18RadixRankAlgorithm0E6__halfEvPKT4_Pijj.num_vgpr, 16
	.set _Z11rank_kernelILj128ELj1ELj4ELb0EL18RadixRankAlgorithm0E6__halfEvPKT4_Pijj.num_agpr, 0
	.set _Z11rank_kernelILj128ELj1ELj4ELb0EL18RadixRankAlgorithm0E6__halfEvPKT4_Pijj.numbered_sgpr, 10
	.set _Z11rank_kernelILj128ELj1ELj4ELb0EL18RadixRankAlgorithm0E6__halfEvPKT4_Pijj.num_named_barrier, 0
	.set _Z11rank_kernelILj128ELj1ELj4ELb0EL18RadixRankAlgorithm0E6__halfEvPKT4_Pijj.private_seg_size, 0
	.set _Z11rank_kernelILj128ELj1ELj4ELb0EL18RadixRankAlgorithm0E6__halfEvPKT4_Pijj.uses_vcc, 1
	.set _Z11rank_kernelILj128ELj1ELj4ELb0EL18RadixRankAlgorithm0E6__halfEvPKT4_Pijj.uses_flat_scratch, 0
	.set _Z11rank_kernelILj128ELj1ELj4ELb0EL18RadixRankAlgorithm0E6__halfEvPKT4_Pijj.has_dyn_sized_stack, 0
	.set _Z11rank_kernelILj128ELj1ELj4ELb0EL18RadixRankAlgorithm0E6__halfEvPKT4_Pijj.has_recursion, 0
	.set _Z11rank_kernelILj128ELj1ELj4ELb0EL18RadixRankAlgorithm0E6__halfEvPKT4_Pijj.has_indirect_call, 0
	.section	.AMDGPU.csdata,"",@progbits
; Kernel info:
; codeLenInByte = 960
; TotalNumSgprs: 14
; NumVgprs: 16
; ScratchSize: 0
; MemoryBound: 0
; FloatMode: 240
; IeeeMode: 1
; LDSByteSize: 4112 bytes/workgroup (compile time only)
; SGPRBlocks: 8
; VGPRBlocks: 7
; NumSGPRsForWavesPerEU: 65
; NumVGPRsForWavesPerEU: 29
; Occupancy: 8
; WaveLimiterHint : 0
; COMPUTE_PGM_RSRC2:SCRATCH_EN: 0
; COMPUTE_PGM_RSRC2:USER_SGPR: 6
; COMPUTE_PGM_RSRC2:TRAP_HANDLER: 0
; COMPUTE_PGM_RSRC2:TGID_X_EN: 1
; COMPUTE_PGM_RSRC2:TGID_Y_EN: 0
; COMPUTE_PGM_RSRC2:TGID_Z_EN: 0
; COMPUTE_PGM_RSRC2:TIDIG_COMP_CNT: 0
	.section	.text._Z11rank_kernelILj64ELj1ELj4ELb0EL18RadixRankAlgorithm0EjEvPKT4_Pijj,"axG",@progbits,_Z11rank_kernelILj64ELj1ELj4ELb0EL18RadixRankAlgorithm0EjEvPKT4_Pijj,comdat
	.protected	_Z11rank_kernelILj64ELj1ELj4ELb0EL18RadixRankAlgorithm0EjEvPKT4_Pijj ; -- Begin function _Z11rank_kernelILj64ELj1ELj4ELb0EL18RadixRankAlgorithm0EjEvPKT4_Pijj
	.globl	_Z11rank_kernelILj64ELj1ELj4ELb0EL18RadixRankAlgorithm0EjEvPKT4_Pijj
	.p2align	8
	.type	_Z11rank_kernelILj64ELj1ELj4ELb0EL18RadixRankAlgorithm0EjEvPKT4_Pijj,@function
_Z11rank_kernelILj64ELj1ELj4ELb0EL18RadixRankAlgorithm0EjEvPKT4_Pijj: ; @_Z11rank_kernelILj64ELj1ELj4ELb0EL18RadixRankAlgorithm0EjEvPKT4_Pijj
; %bb.0:
	s_load_dwordx4 s[0:3], s[4:5], 0x0
	s_lshl_b32 s6, s6, 6
	s_mov_b32 s7, 0
	s_lshl_b64 s[6:7], s[6:7], 2
	v_lshlrev_b32_e32 v1, 2, v0
	s_waitcnt lgkmcnt(0)
	s_add_u32 s0, s0, s6
	s_addc_u32 s1, s1, s7
	global_load_dword v2, v1, s[0:1]
	s_movk_i32 s0, 0x200
	v_mov_b32_e32 v3, 0
	v_cmp_gt_u32_e32 vcc, s0, v0
	s_and_saveexec_b64 s[0:1], vcc
	s_cbranch_execz .LBB24_9
; %bb.1:
	s_movk_i32 s8, 0x1c0
	v_cmp_gt_u32_e32 vcc, s8, v0
	ds_write_b32 v1, v3
	s_and_b64 exec, exec, vcc
	s_cbranch_execz .LBB24_9
; %bb.2:
	s_movk_i32 s8, 0x180
	v_mov_b32_e32 v3, 0
	v_cmp_gt_u32_e32 vcc, s8, v0
	ds_write_b32 v1, v3 offset:256
	s_and_b64 exec, exec, vcc
	s_cbranch_execz .LBB24_9
; %bb.3:
	s_movk_i32 s8, 0x140
	v_cmp_gt_u32_e32 vcc, s8, v0
	ds_write_b32 v1, v3 offset:512
	s_and_b64 exec, exec, vcc
	s_cbranch_execz .LBB24_9
; %bb.4:
	s_movk_i32 s8, 0x100
	v_mov_b32_e32 v3, 0
	v_cmp_gt_u32_e32 vcc, s8, v0
	ds_write_b32 v1, v3 offset:768
	s_and_b64 exec, exec, vcc
	s_cbranch_execz .LBB24_9
; %bb.5:
	s_movk_i32 s8, 0xc0
	v_cmp_gt_u32_e32 vcc, s8, v0
	ds_write_b32 v1, v3 offset:1024
	s_and_b64 exec, exec, vcc
	s_cbranch_execz .LBB24_9
; %bb.6:
	s_movk_i32 s8, 0x80
	v_mov_b32_e32 v3, 0
	v_cmp_gt_u32_e32 vcc, s8, v0
	ds_write_b32 v1, v3 offset:1280
	s_and_b64 exec, exec, vcc
	s_cbranch_execz .LBB24_9
; %bb.7:
	v_cmp_gt_u32_e32 vcc, 64, v0
	ds_write_b32 v1, v3 offset:1536
	s_and_b64 exec, exec, vcc
; %bb.8:
	v_mov_b32_e32 v3, 0
	ds_write_b32 v1, v3 offset:1792
.LBB24_9:
	s_or_b64 exec, exec, s[0:1]
	s_load_dwordx2 s[0:1], s[4:5], 0x10
	s_waitcnt lgkmcnt(0)
	s_and_b32 s1, s1, 31
	s_and_b32 s0, s0, 31
	s_add_i32 s0, s0, s1
	s_sub_i32 s4, 32, s1
	s_sub_i32 s0, 32, s0
	s_waitcnt vmcnt(0)
	v_lshlrev_b32_e32 v2, s0, v2
	s_cmp_lg_u32 s1, 0
	v_lshrrev_b32_e32 v2, s4, v2
	s_cselect_b64 vcc, -1, 0
	v_cndmask_b32_e32 v2, 0, v2, vcc
	v_lshlrev_b32_e32 v3, 6, v2
	s_movk_i32 s0, 0x1c0
	v_lshrrev_b32_e32 v2, 2, v2
	v_and_or_b32 v3, v3, s0, v0
	v_and_b32_e32 v2, 0x3ffffffe, v2
	v_lshl_add_u32 v2, v3, 2, v2
	ds_read_u16 v3, v2
	s_waitcnt lgkmcnt(0)
	v_add_u16_e32 v4, 1, v3
	ds_write_b16 v2, v4
	v_lshlrev_b32_e32 v4, 5, v0
	s_waitcnt lgkmcnt(0)
	; wave barrier
	ds_read_b128 v[5:8], v4
	ds_read_b128 v[9:12], v4 offset:16
	s_waitcnt lgkmcnt(1)
	v_add_u32_e32 v5, v6, v5
	v_add3_u32 v5, v5, v7, v8
	s_waitcnt lgkmcnt(0)
	v_add3_u32 v5, v5, v9, v10
	v_add3_u32 v6, v5, v11, v12
	v_mbcnt_lo_u32_b32 v5, -1, 0
	v_mbcnt_hi_u32_b32 v5, -1, v5
	v_and_b32_e32 v7, 15, v5
	v_mov_b32_dpp v8, v6 row_shr:1 row_mask:0xf bank_mask:0xf
	v_cmp_ne_u32_e32 vcc, 0, v7
	v_cndmask_b32_e32 v8, 0, v8, vcc
	v_add_u32_e32 v6, v8, v6
	v_cmp_lt_u32_e32 vcc, 1, v7
	s_nop 0
	v_mov_b32_dpp v8, v6 row_shr:2 row_mask:0xf bank_mask:0xf
	v_cndmask_b32_e32 v8, 0, v8, vcc
	v_add_u32_e32 v6, v6, v8
	v_cmp_lt_u32_e32 vcc, 3, v7
	s_nop 0
	v_mov_b32_dpp v8, v6 row_shr:4 row_mask:0xf bank_mask:0xf
	;; [unrolled: 5-line block ×3, first 2 shown]
	v_cndmask_b32_e32 v7, 0, v8, vcc
	v_add_u32_e32 v6, v6, v7
	v_bfe_i32 v8, v5, 4, 1
	v_cmp_lt_u32_e32 vcc, 31, v5
	v_mov_b32_dpp v7, v6 row_bcast:15 row_mask:0xf bank_mask:0xf
	v_and_b32_e32 v7, v8, v7
	v_add_u32_e32 v6, v6, v7
	s_nop 1
	v_mov_b32_dpp v7, v6 row_bcast:31 row_mask:0xf bank_mask:0xf
	v_cndmask_b32_e32 v7, 0, v7, vcc
	v_add_u32_e32 v6, v6, v7
	v_cmp_eq_u32_e32 vcc, 63, v0
	s_and_saveexec_b64 s[0:1], vcc
; %bb.10:
	v_mov_b32_e32 v0, 0
	ds_write_b32 v0, v6 offset:2048
; %bb.11:
	s_or_b64 exec, exec, s[0:1]
	v_subrev_co_u32_e32 v0, vcc, 1, v5
	v_and_b32_e32 v7, 64, v5
	v_cmp_lt_i32_e64 s[0:1], v0, v7
	v_cndmask_b32_e64 v0, v0, v5, s[0:1]
	v_lshlrev_b32_e32 v0, 2, v0
	ds_bpermute_b32 v0, v0, v6
	v_mov_b32_e32 v5, 0
	s_waitcnt lgkmcnt(0)
	; wave barrier
	ds_read_b32 v9, v5 offset:2048
	ds_read_b128 v[5:8], v4
	v_cndmask_b32_e64 v0, v0, 0, vcc
	ds_read_b96 v[13:15], v4 offset:16
	s_add_u32 s0, s2, s6
	s_waitcnt lgkmcnt(2)
	v_lshl_add_u32 v9, v9, 16, v0
	s_waitcnt lgkmcnt(1)
	v_add_u32_e32 v10, v9, v5
	v_add_u32_e32 v11, v6, v10
	;; [unrolled: 1-line block ×4, first 2 shown]
	s_waitcnt lgkmcnt(0)
	v_add_u32_e32 v6, v13, v5
	v_add_u32_e32 v7, v14, v6
	;; [unrolled: 1-line block ×3, first 2 shown]
	ds_write_b128 v4, v[9:12]
	ds_write_b128 v4, v[5:8] offset:16
	s_waitcnt lgkmcnt(0)
	; wave barrier
	ds_read_u16 v0, v2
	s_addc_u32 s1, s3, s7
	s_waitcnt lgkmcnt(0)
	v_add_u32_sdwa v0, v0, v3 dst_sel:DWORD dst_unused:UNUSED_PAD src0_sel:DWORD src1_sel:WORD_0
	global_store_dword v1, v0, s[0:1]
	s_endpgm
	.section	.rodata,"a",@progbits
	.p2align	6, 0x0
	.amdhsa_kernel _Z11rank_kernelILj64ELj1ELj4ELb0EL18RadixRankAlgorithm0EjEvPKT4_Pijj
		.amdhsa_group_segment_fixed_size 2064
		.amdhsa_private_segment_fixed_size 0
		.amdhsa_kernarg_size 24
		.amdhsa_user_sgpr_count 6
		.amdhsa_user_sgpr_private_segment_buffer 1
		.amdhsa_user_sgpr_dispatch_ptr 0
		.amdhsa_user_sgpr_queue_ptr 0
		.amdhsa_user_sgpr_kernarg_segment_ptr 1
		.amdhsa_user_sgpr_dispatch_id 0
		.amdhsa_user_sgpr_flat_scratch_init 0
		.amdhsa_user_sgpr_private_segment_size 0
		.amdhsa_uses_dynamic_stack 0
		.amdhsa_system_sgpr_private_segment_wavefront_offset 0
		.amdhsa_system_sgpr_workgroup_id_x 1
		.amdhsa_system_sgpr_workgroup_id_y 0
		.amdhsa_system_sgpr_workgroup_id_z 0
		.amdhsa_system_sgpr_workgroup_info 0
		.amdhsa_system_vgpr_workitem_id 0
		.amdhsa_next_free_vgpr 29
		.amdhsa_next_free_sgpr 61
		.amdhsa_reserve_vcc 1
		.amdhsa_reserve_flat_scratch 0
		.amdhsa_float_round_mode_32 0
		.amdhsa_float_round_mode_16_64 0
		.amdhsa_float_denorm_mode_32 3
		.amdhsa_float_denorm_mode_16_64 3
		.amdhsa_dx10_clamp 1
		.amdhsa_ieee_mode 1
		.amdhsa_fp16_overflow 0
		.amdhsa_exception_fp_ieee_invalid_op 0
		.amdhsa_exception_fp_denorm_src 0
		.amdhsa_exception_fp_ieee_div_zero 0
		.amdhsa_exception_fp_ieee_overflow 0
		.amdhsa_exception_fp_ieee_underflow 0
		.amdhsa_exception_fp_ieee_inexact 0
		.amdhsa_exception_int_div_zero 0
	.end_amdhsa_kernel
	.section	.text._Z11rank_kernelILj64ELj1ELj4ELb0EL18RadixRankAlgorithm0EjEvPKT4_Pijj,"axG",@progbits,_Z11rank_kernelILj64ELj1ELj4ELb0EL18RadixRankAlgorithm0EjEvPKT4_Pijj,comdat
.Lfunc_end24:
	.size	_Z11rank_kernelILj64ELj1ELj4ELb0EL18RadixRankAlgorithm0EjEvPKT4_Pijj, .Lfunc_end24-_Z11rank_kernelILj64ELj1ELj4ELb0EL18RadixRankAlgorithm0EjEvPKT4_Pijj
                                        ; -- End function
	.set _Z11rank_kernelILj64ELj1ELj4ELb0EL18RadixRankAlgorithm0EjEvPKT4_Pijj.num_vgpr, 16
	.set _Z11rank_kernelILj64ELj1ELj4ELb0EL18RadixRankAlgorithm0EjEvPKT4_Pijj.num_agpr, 0
	.set _Z11rank_kernelILj64ELj1ELj4ELb0EL18RadixRankAlgorithm0EjEvPKT4_Pijj.numbered_sgpr, 9
	.set _Z11rank_kernelILj64ELj1ELj4ELb0EL18RadixRankAlgorithm0EjEvPKT4_Pijj.num_named_barrier, 0
	.set _Z11rank_kernelILj64ELj1ELj4ELb0EL18RadixRankAlgorithm0EjEvPKT4_Pijj.private_seg_size, 0
	.set _Z11rank_kernelILj64ELj1ELj4ELb0EL18RadixRankAlgorithm0EjEvPKT4_Pijj.uses_vcc, 1
	.set _Z11rank_kernelILj64ELj1ELj4ELb0EL18RadixRankAlgorithm0EjEvPKT4_Pijj.uses_flat_scratch, 0
	.set _Z11rank_kernelILj64ELj1ELj4ELb0EL18RadixRankAlgorithm0EjEvPKT4_Pijj.has_dyn_sized_stack, 0
	.set _Z11rank_kernelILj64ELj1ELj4ELb0EL18RadixRankAlgorithm0EjEvPKT4_Pijj.has_recursion, 0
	.set _Z11rank_kernelILj64ELj1ELj4ELb0EL18RadixRankAlgorithm0EjEvPKT4_Pijj.has_indirect_call, 0
	.section	.AMDGPU.csdata,"",@progbits
; Kernel info:
; codeLenInByte = 796
; TotalNumSgprs: 13
; NumVgprs: 16
; ScratchSize: 0
; MemoryBound: 0
; FloatMode: 240
; IeeeMode: 1
; LDSByteSize: 2064 bytes/workgroup (compile time only)
; SGPRBlocks: 8
; VGPRBlocks: 7
; NumSGPRsForWavesPerEU: 65
; NumVGPRsForWavesPerEU: 29
; Occupancy: 8
; WaveLimiterHint : 0
; COMPUTE_PGM_RSRC2:SCRATCH_EN: 0
; COMPUTE_PGM_RSRC2:USER_SGPR: 6
; COMPUTE_PGM_RSRC2:TRAP_HANDLER: 0
; COMPUTE_PGM_RSRC2:TGID_X_EN: 1
; COMPUTE_PGM_RSRC2:TGID_Y_EN: 0
; COMPUTE_PGM_RSRC2:TGID_Z_EN: 0
; COMPUTE_PGM_RSRC2:TIDIG_COMP_CNT: 0
	.section	.text._Z11rank_kernelILj193ELj2ELj4ELb1EL18RadixRankAlgorithm1E12hip_bfloat16EvPKT4_Pijj,"axG",@progbits,_Z11rank_kernelILj193ELj2ELj4ELb1EL18RadixRankAlgorithm1E12hip_bfloat16EvPKT4_Pijj,comdat
	.protected	_Z11rank_kernelILj193ELj2ELj4ELb1EL18RadixRankAlgorithm1E12hip_bfloat16EvPKT4_Pijj ; -- Begin function _Z11rank_kernelILj193ELj2ELj4ELb1EL18RadixRankAlgorithm1E12hip_bfloat16EvPKT4_Pijj
	.globl	_Z11rank_kernelILj193ELj2ELj4ELb1EL18RadixRankAlgorithm1E12hip_bfloat16EvPKT4_Pijj
	.p2align	8
	.type	_Z11rank_kernelILj193ELj2ELj4ELb1EL18RadixRankAlgorithm1E12hip_bfloat16EvPKT4_Pijj,@function
_Z11rank_kernelILj193ELj2ELj4ELb1EL18RadixRankAlgorithm1E12hip_bfloat16EvPKT4_Pijj: ; @_Z11rank_kernelILj193ELj2ELj4ELb1EL18RadixRankAlgorithm1E12hip_bfloat16EvPKT4_Pijj
; %bb.0:
	s_load_dwordx4 s[0:3], s[4:5], 0x0
	s_mulk_i32 s6, 0x182
	s_mov_b32 s7, 0
	s_lshl_b64 s[8:9], s[6:7], 1
	v_lshlrev_b32_e32 v1, 2, v0
	s_waitcnt lgkmcnt(0)
	s_add_u32 s0, s0, s8
	s_addc_u32 s1, s1, s9
	global_load_dword v2, v1, s[0:1]
	s_movk_i32 s0, 0x3c5
	v_mov_b32_e32 v3, 0
	v_cmp_gt_u32_e32 vcc, s0, v0
	ds_write2_b32 v1, v3, v3 offset1:193
	ds_write_b32 v1, v3 offset:1544
	s_and_saveexec_b64 s[0:1], vcc
	s_cbranch_execz .LBB25_6
; %bb.1:
	s_movk_i32 s8, 0x304
	v_cmp_gt_u32_e32 vcc, s8, v0
	ds_write_b32 v1, v3 offset:2316
	s_and_b64 exec, exec, vcc
	s_cbranch_execz .LBB25_6
; %bb.2:
	s_movk_i32 s8, 0x243
	v_mov_b32_e32 v3, 0
	v_cmp_gt_u32_e32 vcc, s8, v0
	ds_write_b32 v1, v3 offset:3088
	s_and_b64 exec, exec, vcc
	s_cbranch_execz .LBB25_6
; %bb.3:
	s_movk_i32 s8, 0x182
	v_cmp_gt_u32_e32 vcc, s8, v0
	ds_write_b32 v1, v3 offset:3860
	s_and_b64 exec, exec, vcc
	s_cbranch_execz .LBB25_6
; %bb.4:
	s_movk_i32 s8, 0xc1
	v_mov_b32_e32 v3, 0
	v_cmp_gt_u32_e32 vcc, s8, v0
	ds_write_b32 v1, v3 offset:4632
	s_and_b64 exec, exec, vcc
; %bb.5:
	ds_write_b32 v1, v3 offset:5404
.LBB25_6:
	s_or_b64 exec, exec, s[0:1]
	s_load_dwordx2 s[0:1], s[4:5], 0x10
	v_mov_b32_e32 v3, 0xffff8000
	s_waitcnt vmcnt(0)
	v_cmp_lt_i16_e32 vcc, -1, v2
	v_cndmask_b32_e32 v4, -1, v3, vcc
	v_xor_b32_e32 v4, v4, v2
	s_waitcnt lgkmcnt(0)
	s_and_b32 s1, s1, 31
	s_cmp_eq_u32 s1, 0
	s_cselect_b64 s[4:5], -1, 0
	s_and_b32 s0, s0, 31
	s_movk_i32 s8, 0x7fff
	s_add_i32 s0, s0, s1
	v_cmp_ne_u16_e32 vcc, s8, v4
	s_sub_i32 s0, 32, s0
	v_cndmask_b32_e32 v4, v3, v4, vcc
	s_sub_i32 s1, 32, s1
	v_lshlrev_b32_sdwa v4, s0, v4 dst_sel:DWORD dst_unused:UNUSED_PAD src0_sel:DWORD src1_sel:WORD_0
	v_bfe_u32 v4, v4, s1, 16
	v_xor_b32_e32 v4, 15, v4
	v_cndmask_b32_e64 v4, v4, 15, s[4:5]
	v_and_b32_e32 v5, 7, v4
	s_movk_i32 s9, 0xc1
	v_lshrrev_b32_e32 v4, 2, v4
	v_mad_u32_u24 v5, v5, s9, v0
	v_and_b32_e32 v4, 0x3ffe, v4
	v_lshl_add_u32 v10, v5, 2, v4
	v_mov_b32_e32 v4, -1
	v_cmp_gt_i16_sdwa vcc, v2, v4 src0_sel:WORD_1 src1_sel:DWORD
	v_cndmask_b32_e32 v4, -1, v3, vcc
	v_xor_b32_sdwa v2, v4, v2 dst_sel:DWORD dst_unused:UNUSED_PAD src0_sel:DWORD src1_sel:WORD_1
	v_cmp_ne_u16_e32 vcc, s8, v2
	v_cndmask_b32_e32 v2, v3, v2, vcc
	ds_read_u16 v9, v10
	v_lshlrev_b32_sdwa v2, s0, v2 dst_sel:DWORD dst_unused:UNUSED_PAD src0_sel:DWORD src1_sel:WORD_0
	v_bfe_u32 v2, v2, s1, 16
	v_xor_b32_e32 v2, 15, v2
	v_cndmask_b32_e64 v2, v2, 15, s[4:5]
	v_and_b32_e32 v3, 7, v2
	v_lshrrev_b32_e32 v2, 2, v2
	s_waitcnt lgkmcnt(0)
	v_add_u16_e32 v4, 1, v9
	v_mad_u32_u24 v3, v3, s9, v0
	v_and_b32_e32 v2, 0x3ffe, v2
	ds_write_b16 v10, v4
	v_lshl_add_u32 v12, v3, 2, v2
	ds_read_u16 v11, v12
	v_mad_u32_u24 v13, v0, 28, v1
	s_waitcnt lgkmcnt(0)
	v_add_u16_e32 v2, 1, v11
	ds_write_b16 v12, v2
	s_waitcnt lgkmcnt(0)
	s_barrier
	ds_read_b128 v[5:8], v13
	ds_read_b128 v[1:4], v13 offset:16
	s_waitcnt lgkmcnt(1)
	v_add_u32_e32 v14, v6, v5
	v_add3_u32 v14, v14, v7, v8
	s_waitcnt lgkmcnt(0)
	v_add3_u32 v14, v14, v1, v2
	v_add3_u32 v14, v14, v3, v4
	v_mbcnt_lo_u32_b32 v4, -1, 0
	v_mbcnt_hi_u32_b32 v4, -1, v4
	v_and_b32_e32 v15, 15, v4
	v_mov_b32_dpp v16, v14 row_shr:1 row_mask:0xf bank_mask:0xf
	v_cmp_ne_u32_e32 vcc, 0, v15
	v_cndmask_b32_e32 v16, 0, v16, vcc
	v_add_u32_e32 v14, v16, v14
	v_cmp_lt_u32_e32 vcc, 1, v15
	s_nop 0
	v_mov_b32_dpp v16, v14 row_shr:2 row_mask:0xf bank_mask:0xf
	v_cndmask_b32_e32 v16, 0, v16, vcc
	v_add_u32_e32 v14, v14, v16
	v_cmp_lt_u32_e32 vcc, 3, v15
	s_nop 0
	v_mov_b32_dpp v16, v14 row_shr:4 row_mask:0xf bank_mask:0xf
	;; [unrolled: 5-line block ×3, first 2 shown]
	v_cndmask_b32_e32 v15, 0, v16, vcc
	v_add_u32_e32 v14, v14, v15
	v_bfe_i32 v16, v4, 4, 1
	v_cmp_lt_u32_e32 vcc, 31, v4
	v_mov_b32_dpp v15, v14 row_bcast:15 row_mask:0xf bank_mask:0xf
	v_and_b32_e32 v15, v16, v15
	v_add_u32_e32 v14, v14, v15
	v_and_b32_e32 v16, 0xc0, v0
	v_min_u32_e32 v16, 0x81, v16
	v_mov_b32_dpp v15, v14 row_bcast:31 row_mask:0xf bank_mask:0xf
	v_cndmask_b32_e32 v15, 0, v15, vcc
	v_add_u32_e32 v15, v14, v15
	v_lshrrev_b32_e32 v14, 6, v0
	v_add_u32_e32 v16, 63, v16
	v_cmp_eq_u32_e32 vcc, v0, v16
	v_lshlrev_b32_e32 v16, 2, v14
	s_and_saveexec_b64 s[0:1], vcc
; %bb.7:
	ds_write_b32 v16, v15 offset:6176
; %bb.8:
	s_or_b64 exec, exec, s[0:1]
	v_lshlrev_b32_e32 v14, 1, v0
	v_cmp_gt_u32_e32 vcc, 4, v0
	s_waitcnt lgkmcnt(0)
	s_barrier
	s_and_saveexec_b64 s[0:1], vcc
	s_cbranch_execz .LBB25_10
; %bb.9:
	s_movk_i32 s4, 0xffe4
	v_mad_i32_i24 v17, v0, s4, v13
	ds_read_b32 v18, v17 offset:6176
	v_and_b32_e32 v19, 3, v4
	v_cmp_ne_u32_e32 vcc, 0, v19
	s_waitcnt lgkmcnt(0)
	v_mov_b32_dpp v20, v18 row_shr:1 row_mask:0xf bank_mask:0xf
	v_cndmask_b32_e32 v20, 0, v20, vcc
	v_add_u32_e32 v18, v20, v18
	v_cmp_lt_u32_e32 vcc, 1, v19
	s_nop 0
	v_mov_b32_dpp v20, v18 row_shr:2 row_mask:0xf bank_mask:0xf
	v_cndmask_b32_e32 v19, 0, v20, vcc
	v_add_u32_e32 v18, v18, v19
	ds_write_b32 v17, v18 offset:6176
.LBB25_10:
	s_or_b64 exec, exec, s[0:1]
	v_cmp_lt_u32_e32 vcc, 63, v0
	v_mov_b32_e32 v0, 0
	v_mov_b32_e32 v17, 0
	s_waitcnt lgkmcnt(0)
	s_barrier
	s_and_saveexec_b64 s[0:1], vcc
; %bb.11:
	ds_read_b32 v17, v16 offset:6172
; %bb.12:
	s_or_b64 exec, exec, s[0:1]
	v_subrev_co_u32_e32 v16, vcc, 1, v4
	v_and_b32_e32 v18, 64, v4
	v_cmp_lt_i32_e64 s[0:1], v16, v18
	v_cndmask_b32_e64 v4, v16, v4, s[0:1]
	s_waitcnt lgkmcnt(0)
	v_add_u32_e32 v15, v17, v15
	v_lshlrev_b32_e32 v4, 2, v4
	ds_bpermute_b32 v4, v4, v15
	ds_read_b32 v0, v0 offset:6188
	s_lshl_b64 s[0:1], s[6:7], 2
	s_add_u32 s0, s2, s0
	s_addc_u32 s1, s3, s1
	s_waitcnt lgkmcnt(1)
	v_cndmask_b32_e32 v4, v4, v17, vcc
	s_waitcnt lgkmcnt(0)
	v_lshl_add_u32 v4, v0, 16, v4
	v_add_u32_e32 v5, v4, v5
	v_add_u32_e32 v6, v5, v6
	;; [unrolled: 1-line block ×7, first 2 shown]
	ds_write_b128 v13, v[4:7]
	ds_write_b128 v13, v[0:3] offset:16
	s_waitcnt lgkmcnt(0)
	s_barrier
	ds_read_u16 v0, v10
	ds_read_u16 v1, v12
	v_lshlrev_b32_e32 v2, 2, v14
	s_waitcnt lgkmcnt(1)
	v_add_u32_sdwa v0, v0, v9 dst_sel:DWORD dst_unused:UNUSED_PAD src0_sel:DWORD src1_sel:WORD_0
	s_waitcnt lgkmcnt(0)
	v_add_u32_sdwa v1, v1, v11 dst_sel:DWORD dst_unused:UNUSED_PAD src0_sel:DWORD src1_sel:WORD_0
	global_store_dwordx2 v2, v[0:1], s[0:1]
	s_endpgm
	.section	.rodata,"a",@progbits
	.p2align	6, 0x0
	.amdhsa_kernel _Z11rank_kernelILj193ELj2ELj4ELb1EL18RadixRankAlgorithm1E12hip_bfloat16EvPKT4_Pijj
		.amdhsa_group_segment_fixed_size 6192
		.amdhsa_private_segment_fixed_size 0
		.amdhsa_kernarg_size 24
		.amdhsa_user_sgpr_count 6
		.amdhsa_user_sgpr_private_segment_buffer 1
		.amdhsa_user_sgpr_dispatch_ptr 0
		.amdhsa_user_sgpr_queue_ptr 0
		.amdhsa_user_sgpr_kernarg_segment_ptr 1
		.amdhsa_user_sgpr_dispatch_id 0
		.amdhsa_user_sgpr_flat_scratch_init 0
		.amdhsa_user_sgpr_private_segment_size 0
		.amdhsa_uses_dynamic_stack 0
		.amdhsa_system_sgpr_private_segment_wavefront_offset 0
		.amdhsa_system_sgpr_workgroup_id_x 1
		.amdhsa_system_sgpr_workgroup_id_y 0
		.amdhsa_system_sgpr_workgroup_id_z 0
		.amdhsa_system_sgpr_workgroup_info 0
		.amdhsa_system_vgpr_workitem_id 0
		.amdhsa_next_free_vgpr 21
		.amdhsa_next_free_sgpr 10
		.amdhsa_reserve_vcc 1
		.amdhsa_reserve_flat_scratch 0
		.amdhsa_float_round_mode_32 0
		.amdhsa_float_round_mode_16_64 0
		.amdhsa_float_denorm_mode_32 3
		.amdhsa_float_denorm_mode_16_64 3
		.amdhsa_dx10_clamp 1
		.amdhsa_ieee_mode 1
		.amdhsa_fp16_overflow 0
		.amdhsa_exception_fp_ieee_invalid_op 0
		.amdhsa_exception_fp_denorm_src 0
		.amdhsa_exception_fp_ieee_div_zero 0
		.amdhsa_exception_fp_ieee_overflow 0
		.amdhsa_exception_fp_ieee_underflow 0
		.amdhsa_exception_fp_ieee_inexact 0
		.amdhsa_exception_int_div_zero 0
	.end_amdhsa_kernel
	.section	.text._Z11rank_kernelILj193ELj2ELj4ELb1EL18RadixRankAlgorithm1E12hip_bfloat16EvPKT4_Pijj,"axG",@progbits,_Z11rank_kernelILj193ELj2ELj4ELb1EL18RadixRankAlgorithm1E12hip_bfloat16EvPKT4_Pijj,comdat
.Lfunc_end25:
	.size	_Z11rank_kernelILj193ELj2ELj4ELb1EL18RadixRankAlgorithm1E12hip_bfloat16EvPKT4_Pijj, .Lfunc_end25-_Z11rank_kernelILj193ELj2ELj4ELb1EL18RadixRankAlgorithm1E12hip_bfloat16EvPKT4_Pijj
                                        ; -- End function
	.set _Z11rank_kernelILj193ELj2ELj4ELb1EL18RadixRankAlgorithm1E12hip_bfloat16EvPKT4_Pijj.num_vgpr, 21
	.set _Z11rank_kernelILj193ELj2ELj4ELb1EL18RadixRankAlgorithm1E12hip_bfloat16EvPKT4_Pijj.num_agpr, 0
	.set _Z11rank_kernelILj193ELj2ELj4ELb1EL18RadixRankAlgorithm1E12hip_bfloat16EvPKT4_Pijj.numbered_sgpr, 10
	.set _Z11rank_kernelILj193ELj2ELj4ELb1EL18RadixRankAlgorithm1E12hip_bfloat16EvPKT4_Pijj.num_named_barrier, 0
	.set _Z11rank_kernelILj193ELj2ELj4ELb1EL18RadixRankAlgorithm1E12hip_bfloat16EvPKT4_Pijj.private_seg_size, 0
	.set _Z11rank_kernelILj193ELj2ELj4ELb1EL18RadixRankAlgorithm1E12hip_bfloat16EvPKT4_Pijj.uses_vcc, 1
	.set _Z11rank_kernelILj193ELj2ELj4ELb1EL18RadixRankAlgorithm1E12hip_bfloat16EvPKT4_Pijj.uses_flat_scratch, 0
	.set _Z11rank_kernelILj193ELj2ELj4ELb1EL18RadixRankAlgorithm1E12hip_bfloat16EvPKT4_Pijj.has_dyn_sized_stack, 0
	.set _Z11rank_kernelILj193ELj2ELj4ELb1EL18RadixRankAlgorithm1E12hip_bfloat16EvPKT4_Pijj.has_recursion, 0
	.set _Z11rank_kernelILj193ELj2ELj4ELb1EL18RadixRankAlgorithm1E12hip_bfloat16EvPKT4_Pijj.has_indirect_call, 0
	.section	.AMDGPU.csdata,"",@progbits
; Kernel info:
; codeLenInByte = 1080
; TotalNumSgprs: 14
; NumVgprs: 21
; ScratchSize: 0
; MemoryBound: 0
; FloatMode: 240
; IeeeMode: 1
; LDSByteSize: 6192 bytes/workgroup (compile time only)
; SGPRBlocks: 1
; VGPRBlocks: 5
; NumSGPRsForWavesPerEU: 14
; NumVGPRsForWavesPerEU: 21
; Occupancy: 10
; WaveLimiterHint : 0
; COMPUTE_PGM_RSRC2:SCRATCH_EN: 0
; COMPUTE_PGM_RSRC2:USER_SGPR: 6
; COMPUTE_PGM_RSRC2:TRAP_HANDLER: 0
; COMPUTE_PGM_RSRC2:TGID_X_EN: 1
; COMPUTE_PGM_RSRC2:TGID_Y_EN: 0
; COMPUTE_PGM_RSRC2:TGID_Z_EN: 0
; COMPUTE_PGM_RSRC2:TIDIG_COMP_CNT: 0
	.section	.text._Z11rank_kernelILj193ELj2ELj4ELb1EL18RadixRankAlgorithm1E6__halfEvPKT4_Pijj,"axG",@progbits,_Z11rank_kernelILj193ELj2ELj4ELb1EL18RadixRankAlgorithm1E6__halfEvPKT4_Pijj,comdat
	.protected	_Z11rank_kernelILj193ELj2ELj4ELb1EL18RadixRankAlgorithm1E6__halfEvPKT4_Pijj ; -- Begin function _Z11rank_kernelILj193ELj2ELj4ELb1EL18RadixRankAlgorithm1E6__halfEvPKT4_Pijj
	.globl	_Z11rank_kernelILj193ELj2ELj4ELb1EL18RadixRankAlgorithm1E6__halfEvPKT4_Pijj
	.p2align	8
	.type	_Z11rank_kernelILj193ELj2ELj4ELb1EL18RadixRankAlgorithm1E6__halfEvPKT4_Pijj,@function
_Z11rank_kernelILj193ELj2ELj4ELb1EL18RadixRankAlgorithm1E6__halfEvPKT4_Pijj: ; @_Z11rank_kernelILj193ELj2ELj4ELb1EL18RadixRankAlgorithm1E6__halfEvPKT4_Pijj
; %bb.0:
	s_load_dwordx4 s[0:3], s[4:5], 0x0
	s_mulk_i32 s6, 0x182
	s_mov_b32 s7, 0
	s_lshl_b64 s[8:9], s[6:7], 1
	v_lshlrev_b32_e32 v1, 2, v0
	s_waitcnt lgkmcnt(0)
	s_add_u32 s0, s0, s8
	s_addc_u32 s1, s1, s9
	global_load_dword v2, v1, s[0:1]
	s_movk_i32 s0, 0x3c5
	v_mov_b32_e32 v3, 0
	v_cmp_gt_u32_e32 vcc, s0, v0
	ds_write2_b32 v1, v3, v3 offset1:193
	ds_write_b32 v1, v3 offset:1544
	s_and_saveexec_b64 s[0:1], vcc
	s_cbranch_execz .LBB26_6
; %bb.1:
	s_movk_i32 s8, 0x304
	v_cmp_gt_u32_e32 vcc, s8, v0
	ds_write_b32 v1, v3 offset:2316
	s_and_b64 exec, exec, vcc
	s_cbranch_execz .LBB26_6
; %bb.2:
	s_movk_i32 s8, 0x243
	v_mov_b32_e32 v3, 0
	v_cmp_gt_u32_e32 vcc, s8, v0
	ds_write_b32 v1, v3 offset:3088
	s_and_b64 exec, exec, vcc
	s_cbranch_execz .LBB26_6
; %bb.3:
	s_movk_i32 s8, 0x182
	v_cmp_gt_u32_e32 vcc, s8, v0
	ds_write_b32 v1, v3 offset:3860
	s_and_b64 exec, exec, vcc
	s_cbranch_execz .LBB26_6
; %bb.4:
	s_movk_i32 s8, 0xc1
	v_mov_b32_e32 v3, 0
	v_cmp_gt_u32_e32 vcc, s8, v0
	ds_write_b32 v1, v3 offset:4632
	s_and_b64 exec, exec, vcc
; %bb.5:
	ds_write_b32 v1, v3 offset:5404
.LBB26_6:
	s_or_b64 exec, exec, s[0:1]
	s_load_dwordx2 s[0:1], s[4:5], 0x10
	v_mov_b32_e32 v3, 0xffff8000
	s_waitcnt vmcnt(0)
	v_cmp_lt_i16_e32 vcc, -1, v2
	v_cndmask_b32_e32 v4, -1, v3, vcc
	v_xor_b32_e32 v4, v4, v2
	s_waitcnt lgkmcnt(0)
	s_and_b32 s1, s1, 31
	s_cmp_eq_u32 s1, 0
	s_cselect_b64 s[4:5], -1, 0
	s_and_b32 s0, s0, 31
	s_movk_i32 s8, 0x7fff
	s_add_i32 s0, s0, s1
	v_cmp_ne_u16_e32 vcc, s8, v4
	s_sub_i32 s0, 32, s0
	v_cndmask_b32_e32 v4, v3, v4, vcc
	s_sub_i32 s1, 32, s1
	v_lshlrev_b32_sdwa v4, s0, v4 dst_sel:DWORD dst_unused:UNUSED_PAD src0_sel:DWORD src1_sel:WORD_0
	v_bfe_u32 v4, v4, s1, 16
	v_xor_b32_e32 v4, 15, v4
	v_cndmask_b32_e64 v4, v4, 15, s[4:5]
	v_and_b32_e32 v5, 7, v4
	s_movk_i32 s9, 0xc1
	v_lshrrev_b32_e32 v4, 2, v4
	v_mad_u32_u24 v5, v5, s9, v0
	v_and_b32_e32 v4, 0x3ffe, v4
	v_lshl_add_u32 v10, v5, 2, v4
	v_mov_b32_e32 v4, -1
	v_cmp_gt_i16_sdwa vcc, v2, v4 src0_sel:WORD_1 src1_sel:DWORD
	v_cndmask_b32_e32 v4, -1, v3, vcc
	v_xor_b32_sdwa v2, v4, v2 dst_sel:DWORD dst_unused:UNUSED_PAD src0_sel:DWORD src1_sel:WORD_1
	v_cmp_ne_u16_e32 vcc, s8, v2
	v_cndmask_b32_e32 v2, v3, v2, vcc
	ds_read_u16 v9, v10
	v_lshlrev_b32_sdwa v2, s0, v2 dst_sel:DWORD dst_unused:UNUSED_PAD src0_sel:DWORD src1_sel:WORD_0
	v_bfe_u32 v2, v2, s1, 16
	v_xor_b32_e32 v2, 15, v2
	v_cndmask_b32_e64 v2, v2, 15, s[4:5]
	v_and_b32_e32 v3, 7, v2
	v_lshrrev_b32_e32 v2, 2, v2
	s_waitcnt lgkmcnt(0)
	v_add_u16_e32 v4, 1, v9
	v_mad_u32_u24 v3, v3, s9, v0
	v_and_b32_e32 v2, 0x3ffe, v2
	ds_write_b16 v10, v4
	v_lshl_add_u32 v12, v3, 2, v2
	ds_read_u16 v11, v12
	v_mad_u32_u24 v13, v0, 28, v1
	s_waitcnt lgkmcnt(0)
	v_add_u16_e32 v2, 1, v11
	ds_write_b16 v12, v2
	s_waitcnt lgkmcnt(0)
	s_barrier
	ds_read_b128 v[5:8], v13
	ds_read_b128 v[1:4], v13 offset:16
	s_waitcnt lgkmcnt(1)
	v_add_u32_e32 v14, v6, v5
	v_add3_u32 v14, v14, v7, v8
	s_waitcnt lgkmcnt(0)
	v_add3_u32 v14, v14, v1, v2
	v_add3_u32 v14, v14, v3, v4
	v_mbcnt_lo_u32_b32 v4, -1, 0
	v_mbcnt_hi_u32_b32 v4, -1, v4
	v_and_b32_e32 v15, 15, v4
	v_mov_b32_dpp v16, v14 row_shr:1 row_mask:0xf bank_mask:0xf
	v_cmp_ne_u32_e32 vcc, 0, v15
	v_cndmask_b32_e32 v16, 0, v16, vcc
	v_add_u32_e32 v14, v16, v14
	v_cmp_lt_u32_e32 vcc, 1, v15
	s_nop 0
	v_mov_b32_dpp v16, v14 row_shr:2 row_mask:0xf bank_mask:0xf
	v_cndmask_b32_e32 v16, 0, v16, vcc
	v_add_u32_e32 v14, v14, v16
	v_cmp_lt_u32_e32 vcc, 3, v15
	s_nop 0
	v_mov_b32_dpp v16, v14 row_shr:4 row_mask:0xf bank_mask:0xf
	;; [unrolled: 5-line block ×3, first 2 shown]
	v_cndmask_b32_e32 v15, 0, v16, vcc
	v_add_u32_e32 v14, v14, v15
	v_bfe_i32 v16, v4, 4, 1
	v_cmp_lt_u32_e32 vcc, 31, v4
	v_mov_b32_dpp v15, v14 row_bcast:15 row_mask:0xf bank_mask:0xf
	v_and_b32_e32 v15, v16, v15
	v_add_u32_e32 v14, v14, v15
	v_and_b32_e32 v16, 0xc0, v0
	v_min_u32_e32 v16, 0x81, v16
	v_mov_b32_dpp v15, v14 row_bcast:31 row_mask:0xf bank_mask:0xf
	v_cndmask_b32_e32 v15, 0, v15, vcc
	v_add_u32_e32 v15, v14, v15
	v_lshrrev_b32_e32 v14, 6, v0
	v_add_u32_e32 v16, 63, v16
	v_cmp_eq_u32_e32 vcc, v0, v16
	v_lshlrev_b32_e32 v16, 2, v14
	s_and_saveexec_b64 s[0:1], vcc
; %bb.7:
	ds_write_b32 v16, v15 offset:6176
; %bb.8:
	s_or_b64 exec, exec, s[0:1]
	v_lshlrev_b32_e32 v14, 1, v0
	v_cmp_gt_u32_e32 vcc, 4, v0
	s_waitcnt lgkmcnt(0)
	s_barrier
	s_and_saveexec_b64 s[0:1], vcc
	s_cbranch_execz .LBB26_10
; %bb.9:
	s_movk_i32 s4, 0xffe4
	v_mad_i32_i24 v17, v0, s4, v13
	ds_read_b32 v18, v17 offset:6176
	v_and_b32_e32 v19, 3, v4
	v_cmp_ne_u32_e32 vcc, 0, v19
	s_waitcnt lgkmcnt(0)
	v_mov_b32_dpp v20, v18 row_shr:1 row_mask:0xf bank_mask:0xf
	v_cndmask_b32_e32 v20, 0, v20, vcc
	v_add_u32_e32 v18, v20, v18
	v_cmp_lt_u32_e32 vcc, 1, v19
	s_nop 0
	v_mov_b32_dpp v20, v18 row_shr:2 row_mask:0xf bank_mask:0xf
	v_cndmask_b32_e32 v19, 0, v20, vcc
	v_add_u32_e32 v18, v18, v19
	ds_write_b32 v17, v18 offset:6176
.LBB26_10:
	s_or_b64 exec, exec, s[0:1]
	v_cmp_lt_u32_e32 vcc, 63, v0
	v_mov_b32_e32 v0, 0
	v_mov_b32_e32 v17, 0
	s_waitcnt lgkmcnt(0)
	s_barrier
	s_and_saveexec_b64 s[0:1], vcc
; %bb.11:
	ds_read_b32 v17, v16 offset:6172
; %bb.12:
	s_or_b64 exec, exec, s[0:1]
	v_subrev_co_u32_e32 v16, vcc, 1, v4
	v_and_b32_e32 v18, 64, v4
	v_cmp_lt_i32_e64 s[0:1], v16, v18
	v_cndmask_b32_e64 v4, v16, v4, s[0:1]
	s_waitcnt lgkmcnt(0)
	v_add_u32_e32 v15, v17, v15
	v_lshlrev_b32_e32 v4, 2, v4
	ds_bpermute_b32 v4, v4, v15
	ds_read_b32 v0, v0 offset:6188
	s_lshl_b64 s[0:1], s[6:7], 2
	s_add_u32 s0, s2, s0
	s_addc_u32 s1, s3, s1
	s_waitcnt lgkmcnt(1)
	v_cndmask_b32_e32 v4, v4, v17, vcc
	s_waitcnt lgkmcnt(0)
	v_lshl_add_u32 v4, v0, 16, v4
	v_add_u32_e32 v5, v4, v5
	v_add_u32_e32 v6, v5, v6
	;; [unrolled: 1-line block ×7, first 2 shown]
	ds_write_b128 v13, v[4:7]
	ds_write_b128 v13, v[0:3] offset:16
	s_waitcnt lgkmcnt(0)
	s_barrier
	ds_read_u16 v0, v10
	ds_read_u16 v1, v12
	v_lshlrev_b32_e32 v2, 2, v14
	s_waitcnt lgkmcnt(1)
	v_add_u32_sdwa v0, v0, v9 dst_sel:DWORD dst_unused:UNUSED_PAD src0_sel:DWORD src1_sel:WORD_0
	s_waitcnt lgkmcnt(0)
	v_add_u32_sdwa v1, v1, v11 dst_sel:DWORD dst_unused:UNUSED_PAD src0_sel:DWORD src1_sel:WORD_0
	global_store_dwordx2 v2, v[0:1], s[0:1]
	s_endpgm
	.section	.rodata,"a",@progbits
	.p2align	6, 0x0
	.amdhsa_kernel _Z11rank_kernelILj193ELj2ELj4ELb1EL18RadixRankAlgorithm1E6__halfEvPKT4_Pijj
		.amdhsa_group_segment_fixed_size 6192
		.amdhsa_private_segment_fixed_size 0
		.amdhsa_kernarg_size 24
		.amdhsa_user_sgpr_count 6
		.amdhsa_user_sgpr_private_segment_buffer 1
		.amdhsa_user_sgpr_dispatch_ptr 0
		.amdhsa_user_sgpr_queue_ptr 0
		.amdhsa_user_sgpr_kernarg_segment_ptr 1
		.amdhsa_user_sgpr_dispatch_id 0
		.amdhsa_user_sgpr_flat_scratch_init 0
		.amdhsa_user_sgpr_private_segment_size 0
		.amdhsa_uses_dynamic_stack 0
		.amdhsa_system_sgpr_private_segment_wavefront_offset 0
		.amdhsa_system_sgpr_workgroup_id_x 1
		.amdhsa_system_sgpr_workgroup_id_y 0
		.amdhsa_system_sgpr_workgroup_id_z 0
		.amdhsa_system_sgpr_workgroup_info 0
		.amdhsa_system_vgpr_workitem_id 0
		.amdhsa_next_free_vgpr 21
		.amdhsa_next_free_sgpr 10
		.amdhsa_reserve_vcc 1
		.amdhsa_reserve_flat_scratch 0
		.amdhsa_float_round_mode_32 0
		.amdhsa_float_round_mode_16_64 0
		.amdhsa_float_denorm_mode_32 3
		.amdhsa_float_denorm_mode_16_64 3
		.amdhsa_dx10_clamp 1
		.amdhsa_ieee_mode 1
		.amdhsa_fp16_overflow 0
		.amdhsa_exception_fp_ieee_invalid_op 0
		.amdhsa_exception_fp_denorm_src 0
		.amdhsa_exception_fp_ieee_div_zero 0
		.amdhsa_exception_fp_ieee_overflow 0
		.amdhsa_exception_fp_ieee_underflow 0
		.amdhsa_exception_fp_ieee_inexact 0
		.amdhsa_exception_int_div_zero 0
	.end_amdhsa_kernel
	.section	.text._Z11rank_kernelILj193ELj2ELj4ELb1EL18RadixRankAlgorithm1E6__halfEvPKT4_Pijj,"axG",@progbits,_Z11rank_kernelILj193ELj2ELj4ELb1EL18RadixRankAlgorithm1E6__halfEvPKT4_Pijj,comdat
.Lfunc_end26:
	.size	_Z11rank_kernelILj193ELj2ELj4ELb1EL18RadixRankAlgorithm1E6__halfEvPKT4_Pijj, .Lfunc_end26-_Z11rank_kernelILj193ELj2ELj4ELb1EL18RadixRankAlgorithm1E6__halfEvPKT4_Pijj
                                        ; -- End function
	.set _Z11rank_kernelILj193ELj2ELj4ELb1EL18RadixRankAlgorithm1E6__halfEvPKT4_Pijj.num_vgpr, 21
	.set _Z11rank_kernelILj193ELj2ELj4ELb1EL18RadixRankAlgorithm1E6__halfEvPKT4_Pijj.num_agpr, 0
	.set _Z11rank_kernelILj193ELj2ELj4ELb1EL18RadixRankAlgorithm1E6__halfEvPKT4_Pijj.numbered_sgpr, 10
	.set _Z11rank_kernelILj193ELj2ELj4ELb1EL18RadixRankAlgorithm1E6__halfEvPKT4_Pijj.num_named_barrier, 0
	.set _Z11rank_kernelILj193ELj2ELj4ELb1EL18RadixRankAlgorithm1E6__halfEvPKT4_Pijj.private_seg_size, 0
	.set _Z11rank_kernelILj193ELj2ELj4ELb1EL18RadixRankAlgorithm1E6__halfEvPKT4_Pijj.uses_vcc, 1
	.set _Z11rank_kernelILj193ELj2ELj4ELb1EL18RadixRankAlgorithm1E6__halfEvPKT4_Pijj.uses_flat_scratch, 0
	.set _Z11rank_kernelILj193ELj2ELj4ELb1EL18RadixRankAlgorithm1E6__halfEvPKT4_Pijj.has_dyn_sized_stack, 0
	.set _Z11rank_kernelILj193ELj2ELj4ELb1EL18RadixRankAlgorithm1E6__halfEvPKT4_Pijj.has_recursion, 0
	.set _Z11rank_kernelILj193ELj2ELj4ELb1EL18RadixRankAlgorithm1E6__halfEvPKT4_Pijj.has_indirect_call, 0
	.section	.AMDGPU.csdata,"",@progbits
; Kernel info:
; codeLenInByte = 1080
; TotalNumSgprs: 14
; NumVgprs: 21
; ScratchSize: 0
; MemoryBound: 0
; FloatMode: 240
; IeeeMode: 1
; LDSByteSize: 6192 bytes/workgroup (compile time only)
; SGPRBlocks: 1
; VGPRBlocks: 5
; NumSGPRsForWavesPerEU: 14
; NumVGPRsForWavesPerEU: 21
; Occupancy: 10
; WaveLimiterHint : 0
; COMPUTE_PGM_RSRC2:SCRATCH_EN: 0
; COMPUTE_PGM_RSRC2:USER_SGPR: 6
; COMPUTE_PGM_RSRC2:TRAP_HANDLER: 0
; COMPUTE_PGM_RSRC2:TGID_X_EN: 1
; COMPUTE_PGM_RSRC2:TGID_Y_EN: 0
; COMPUTE_PGM_RSRC2:TGID_Z_EN: 0
; COMPUTE_PGM_RSRC2:TIDIG_COMP_CNT: 0
	.section	.text._Z11rank_kernelILj162ELj2ELj6ELb1EL18RadixRankAlgorithm1EjEvPKT4_Pijj,"axG",@progbits,_Z11rank_kernelILj162ELj2ELj6ELb1EL18RadixRankAlgorithm1EjEvPKT4_Pijj,comdat
	.protected	_Z11rank_kernelILj162ELj2ELj6ELb1EL18RadixRankAlgorithm1EjEvPKT4_Pijj ; -- Begin function _Z11rank_kernelILj162ELj2ELj6ELb1EL18RadixRankAlgorithm1EjEvPKT4_Pijj
	.globl	_Z11rank_kernelILj162ELj2ELj6ELb1EL18RadixRankAlgorithm1EjEvPKT4_Pijj
	.p2align	8
	.type	_Z11rank_kernelILj162ELj2ELj6ELb1EL18RadixRankAlgorithm1EjEvPKT4_Pijj,@function
_Z11rank_kernelILj162ELj2ELj6ELb1EL18RadixRankAlgorithm1EjEvPKT4_Pijj: ; @_Z11rank_kernelILj162ELj2ELj6ELb1EL18RadixRankAlgorithm1EjEvPKT4_Pijj
; %bb.0:
	s_load_dwordx4 s[0:3], s[4:5], 0x0
	s_mulk_i32 s6, 0x144
	s_mov_b32 s7, 0
	s_lshl_b64 s[6:7], s[6:7], 2
	v_lshlrev_b32_e32 v1, 3, v0
	s_waitcnt lgkmcnt(0)
	s_add_u32 s0, s0, s6
	s_addc_u32 s1, s1, s7
	global_load_dwordx2 v[1:2], v1, s[0:1]
	v_lshlrev_b32_e32 v33, 1, v0
	v_mov_b32_e32 v3, 0
	v_lshlrev_b32_e32 v4, 2, v0
	v_add_u32_e32 v5, 0xffffff5e, v0
	s_mov_b64 s[0:1], 0
	s_movk_i32 s8, 0x139d
.LBB27_1:                               ; =>This Inner Loop Header: Depth=1
	v_add_u32_e32 v5, 0xa2, v5
	v_cmp_lt_u32_e32 vcc, s8, v5
	ds_write_b32 v4, v3
	s_or_b64 s[0:1], vcc, s[0:1]
	v_add_u32_e32 v4, 0x288, v4
	s_andn2_b64 exec, exec, s[0:1]
	s_cbranch_execnz .LBB27_1
; %bb.2:
	s_or_b64 exec, exec, s[0:1]
	s_load_dwordx2 s[0:1], s[4:5], 0x10
	s_movk_i32 s8, 0xa2
	v_lshlrev_b32_e32 v38, 7, v0
	s_waitcnt lgkmcnt(0)
	s_and_b32 s1, s1, 31
	s_cmp_eq_u32 s1, 0
	s_cselect_b64 s[4:5], -1, 0
	s_and_b32 s0, s0, 31
	s_add_i32 s0, s0, s1
	s_sub_i32 s0, 32, s0
	s_sub_i32 s9, 32, s1
	s_waitcnt vmcnt(0)
	v_lshlrev_b32_e32 v1, s0, v1
	v_lshrrev_b32_e32 v1, s9, v1
	v_xor_b32_e32 v1, 63, v1
	v_cndmask_b32_e64 v1, v1, 63, s[4:5]
	v_and_b32_e32 v3, 31, v1
	v_lshrrev_b32_e32 v1, 4, v1
	v_mad_u32_u24 v3, v3, s8, v0
	v_and_b32_e32 v1, 0xffffffe, v1
	v_lshl_add_u32 v35, v3, 2, v1
	ds_read_u16 v34, v35
	v_lshlrev_b32_e32 v1, s0, v2
	v_lshrrev_b32_e32 v1, s9, v1
	v_xor_b32_e32 v1, 63, v1
	v_cndmask_b32_e64 v1, v1, 63, s[4:5]
	s_waitcnt lgkmcnt(0)
	v_add_u16_e32 v2, 1, v34
	ds_write_b16 v35, v2
	v_and_b32_e32 v2, 31, v1
	v_lshrrev_b32_e32 v1, 4, v1
	v_mad_u32_u24 v2, v2, s8, v0
	v_and_b32_e32 v1, 0xffffffe, v1
	v_lshl_add_u32 v37, v2, 2, v1
	ds_read_u16 v36, v37
	s_waitcnt lgkmcnt(0)
	v_add_u16_e32 v1, 1, v36
	ds_write_b16 v37, v1
	s_waitcnt lgkmcnt(0)
	s_barrier
	ds_read_b128 v[29:32], v38
	ds_read_b128 v[25:28], v38 offset:16
	ds_read_b128 v[21:24], v38 offset:32
	;; [unrolled: 1-line block ×7, first 2 shown]
	s_waitcnt lgkmcnt(7)
	v_add_u32_e32 v39, v30, v29
	v_add3_u32 v39, v39, v31, v32
	s_waitcnt lgkmcnt(6)
	v_add3_u32 v39, v39, v25, v26
	v_add3_u32 v39, v39, v27, v28
	s_waitcnt lgkmcnt(5)
	v_add3_u32 v39, v39, v21, v22
	;; [unrolled: 3-line block ×7, first 2 shown]
	v_add3_u32 v39, v39, v3, v4
	v_mbcnt_lo_u32_b32 v4, -1, 0
	v_mbcnt_hi_u32_b32 v4, -1, v4
	v_and_b32_e32 v40, 15, v4
	v_mov_b32_dpp v41, v39 row_shr:1 row_mask:0xf bank_mask:0xf
	v_cmp_ne_u32_e32 vcc, 0, v40
	v_cndmask_b32_e32 v41, 0, v41, vcc
	v_add_u32_e32 v39, v41, v39
	v_cmp_lt_u32_e32 vcc, 1, v40
	s_nop 0
	v_mov_b32_dpp v41, v39 row_shr:2 row_mask:0xf bank_mask:0xf
	v_cndmask_b32_e32 v41, 0, v41, vcc
	v_add_u32_e32 v39, v39, v41
	v_cmp_lt_u32_e32 vcc, 3, v40
	s_nop 0
	v_mov_b32_dpp v41, v39 row_shr:4 row_mask:0xf bank_mask:0xf
	;; [unrolled: 5-line block ×3, first 2 shown]
	v_cndmask_b32_e32 v40, 0, v41, vcc
	v_add_u32_e32 v39, v39, v40
	v_bfe_i32 v41, v4, 4, 1
	v_cmp_lt_u32_e32 vcc, 31, v4
	v_mov_b32_dpp v40, v39 row_bcast:15 row_mask:0xf bank_mask:0xf
	v_and_b32_e32 v40, v41, v40
	v_add_u32_e32 v39, v39, v40
	v_and_b32_e32 v41, 0xc0, v0
	v_min_u32_e32 v41, 0x62, v41
	v_mov_b32_dpp v40, v39 row_bcast:31 row_mask:0xf bank_mask:0xf
	v_cndmask_b32_e32 v40, 0, v40, vcc
	v_add_u32_e32 v39, v39, v40
	v_lshrrev_b32_e32 v40, 6, v0
	v_add_u32_e32 v41, 63, v41
	v_cmp_eq_u32_e32 vcc, v0, v41
	v_lshlrev_b32_e32 v40, 2, v40
	s_and_saveexec_b64 s[0:1], vcc
; %bb.3:
	ds_write_b32 v40, v39 offset:20736
; %bb.4:
	s_or_b64 exec, exec, s[0:1]
	v_cmp_gt_u32_e32 vcc, 3, v0
	s_waitcnt lgkmcnt(0)
	s_barrier
	s_and_saveexec_b64 s[0:1], vcc
	s_cbranch_execz .LBB27_6
; %bb.5:
	v_lshlrev_b32_e32 v41, 2, v0
	ds_read_b32 v42, v41 offset:20736
	v_and_b32_e32 v43, 3, v4
	v_cmp_ne_u32_e32 vcc, 0, v43
	s_waitcnt lgkmcnt(0)
	v_mov_b32_dpp v44, v42 row_shr:1 row_mask:0xf bank_mask:0xf
	v_cndmask_b32_e32 v44, 0, v44, vcc
	v_add_u32_e32 v42, v44, v42
	v_cmp_lt_u32_e32 vcc, 1, v43
	s_nop 0
	v_mov_b32_dpp v44, v42 row_shr:2 row_mask:0xf bank_mask:0xf
	v_cndmask_b32_e32 v43, 0, v44, vcc
	v_add_u32_e32 v42, v42, v43
	ds_write_b32 v41, v42 offset:20736
.LBB27_6:
	s_or_b64 exec, exec, s[0:1]
	v_cmp_lt_u32_e32 vcc, 63, v0
	v_mov_b32_e32 v0, 0
	v_mov_b32_e32 v41, 0
	s_waitcnt lgkmcnt(0)
	s_barrier
	s_and_saveexec_b64 s[0:1], vcc
; %bb.7:
	ds_read_b32 v41, v40 offset:20732
; %bb.8:
	s_or_b64 exec, exec, s[0:1]
	v_subrev_co_u32_e32 v40, vcc, 1, v4
	v_and_b32_e32 v42, 64, v4
	v_cmp_lt_i32_e64 s[0:1], v40, v42
	v_cndmask_b32_e64 v4, v40, v4, s[0:1]
	s_waitcnt lgkmcnt(0)
	v_add_u32_e32 v39, v41, v39
	v_lshlrev_b32_e32 v4, 2, v4
	ds_bpermute_b32 v4, v4, v39
	ds_read_b32 v0, v0 offset:20744
	s_add_u32 s0, s2, s6
	s_addc_u32 s1, s3, s7
	s_waitcnt lgkmcnt(1)
	v_cndmask_b32_e32 v4, v4, v41, vcc
	s_waitcnt lgkmcnt(0)
	v_lshl_add_u32 v39, v0, 16, v4
	v_add_u32_e32 v40, v39, v29
	v_add_u32_e32 v41, v40, v30
	;; [unrolled: 1-line block ×31, first 2 shown]
	ds_write_b128 v38, v[39:42]
	ds_write_b128 v38, v[29:32] offset:16
	ds_write_b128 v38, v[25:28] offset:32
	;; [unrolled: 1-line block ×7, first 2 shown]
	s_waitcnt lgkmcnt(0)
	s_barrier
	ds_read_u16 v0, v35
	ds_read_u16 v1, v37
	v_lshlrev_b32_e32 v2, 2, v33
	s_waitcnt lgkmcnt(1)
	v_add_u32_sdwa v0, v0, v34 dst_sel:DWORD dst_unused:UNUSED_PAD src0_sel:DWORD src1_sel:WORD_0
	s_waitcnt lgkmcnt(0)
	v_add_u32_sdwa v1, v1, v36 dst_sel:DWORD dst_unused:UNUSED_PAD src0_sel:DWORD src1_sel:WORD_0
	global_store_dwordx2 v2, v[0:1], s[0:1]
	s_endpgm
	.section	.rodata,"a",@progbits
	.p2align	6, 0x0
	.amdhsa_kernel _Z11rank_kernelILj162ELj2ELj6ELb1EL18RadixRankAlgorithm1EjEvPKT4_Pijj
		.amdhsa_group_segment_fixed_size 20752
		.amdhsa_private_segment_fixed_size 0
		.amdhsa_kernarg_size 24
		.amdhsa_user_sgpr_count 6
		.amdhsa_user_sgpr_private_segment_buffer 1
		.amdhsa_user_sgpr_dispatch_ptr 0
		.amdhsa_user_sgpr_queue_ptr 0
		.amdhsa_user_sgpr_kernarg_segment_ptr 1
		.amdhsa_user_sgpr_dispatch_id 0
		.amdhsa_user_sgpr_flat_scratch_init 0
		.amdhsa_user_sgpr_private_segment_size 0
		.amdhsa_uses_dynamic_stack 0
		.amdhsa_system_sgpr_private_segment_wavefront_offset 0
		.amdhsa_system_sgpr_workgroup_id_x 1
		.amdhsa_system_sgpr_workgroup_id_y 0
		.amdhsa_system_sgpr_workgroup_id_z 0
		.amdhsa_system_sgpr_workgroup_info 0
		.amdhsa_system_vgpr_workitem_id 0
		.amdhsa_next_free_vgpr 65
		.amdhsa_next_free_sgpr 98
		.amdhsa_reserve_vcc 1
		.amdhsa_reserve_flat_scratch 0
		.amdhsa_float_round_mode_32 0
		.amdhsa_float_round_mode_16_64 0
		.amdhsa_float_denorm_mode_32 3
		.amdhsa_float_denorm_mode_16_64 3
		.amdhsa_dx10_clamp 1
		.amdhsa_ieee_mode 1
		.amdhsa_fp16_overflow 0
		.amdhsa_exception_fp_ieee_invalid_op 0
		.amdhsa_exception_fp_denorm_src 0
		.amdhsa_exception_fp_ieee_div_zero 0
		.amdhsa_exception_fp_ieee_overflow 0
		.amdhsa_exception_fp_ieee_underflow 0
		.amdhsa_exception_fp_ieee_inexact 0
		.amdhsa_exception_int_div_zero 0
	.end_amdhsa_kernel
	.section	.text._Z11rank_kernelILj162ELj2ELj6ELb1EL18RadixRankAlgorithm1EjEvPKT4_Pijj,"axG",@progbits,_Z11rank_kernelILj162ELj2ELj6ELb1EL18RadixRankAlgorithm1EjEvPKT4_Pijj,comdat
.Lfunc_end27:
	.size	_Z11rank_kernelILj162ELj2ELj6ELb1EL18RadixRankAlgorithm1EjEvPKT4_Pijj, .Lfunc_end27-_Z11rank_kernelILj162ELj2ELj6ELb1EL18RadixRankAlgorithm1EjEvPKT4_Pijj
                                        ; -- End function
	.set _Z11rank_kernelILj162ELj2ELj6ELb1EL18RadixRankAlgorithm1EjEvPKT4_Pijj.num_vgpr, 45
	.set _Z11rank_kernelILj162ELj2ELj6ELb1EL18RadixRankAlgorithm1EjEvPKT4_Pijj.num_agpr, 0
	.set _Z11rank_kernelILj162ELj2ELj6ELb1EL18RadixRankAlgorithm1EjEvPKT4_Pijj.numbered_sgpr, 10
	.set _Z11rank_kernelILj162ELj2ELj6ELb1EL18RadixRankAlgorithm1EjEvPKT4_Pijj.num_named_barrier, 0
	.set _Z11rank_kernelILj162ELj2ELj6ELb1EL18RadixRankAlgorithm1EjEvPKT4_Pijj.private_seg_size, 0
	.set _Z11rank_kernelILj162ELj2ELj6ELb1EL18RadixRankAlgorithm1EjEvPKT4_Pijj.uses_vcc, 1
	.set _Z11rank_kernelILj162ELj2ELj6ELb1EL18RadixRankAlgorithm1EjEvPKT4_Pijj.uses_flat_scratch, 0
	.set _Z11rank_kernelILj162ELj2ELj6ELb1EL18RadixRankAlgorithm1EjEvPKT4_Pijj.has_dyn_sized_stack, 0
	.set _Z11rank_kernelILj162ELj2ELj6ELb1EL18RadixRankAlgorithm1EjEvPKT4_Pijj.has_recursion, 0
	.set _Z11rank_kernelILj162ELj2ELj6ELb1EL18RadixRankAlgorithm1EjEvPKT4_Pijj.has_indirect_call, 0
	.section	.AMDGPU.csdata,"",@progbits
; Kernel info:
; codeLenInByte = 1216
; TotalNumSgprs: 14
; NumVgprs: 45
; ScratchSize: 0
; MemoryBound: 0
; FloatMode: 240
; IeeeMode: 1
; LDSByteSize: 20752 bytes/workgroup (compile time only)
; SGPRBlocks: 12
; VGPRBlocks: 16
; NumSGPRsForWavesPerEU: 102
; NumVGPRsForWavesPerEU: 65
; Occupancy: 3
; WaveLimiterHint : 0
; COMPUTE_PGM_RSRC2:SCRATCH_EN: 0
; COMPUTE_PGM_RSRC2:USER_SGPR: 6
; COMPUTE_PGM_RSRC2:TRAP_HANDLER: 0
; COMPUTE_PGM_RSRC2:TGID_X_EN: 1
; COMPUTE_PGM_RSRC2:TGID_Y_EN: 0
; COMPUTE_PGM_RSRC2:TGID_Z_EN: 0
; COMPUTE_PGM_RSRC2:TIDIG_COMP_CNT: 0
	.section	.text._Z11rank_kernelILj60ELj1ELj3ELb1EL18RadixRankAlgorithm1EfEvPKT4_Pijj,"axG",@progbits,_Z11rank_kernelILj60ELj1ELj3ELb1EL18RadixRankAlgorithm1EfEvPKT4_Pijj,comdat
	.protected	_Z11rank_kernelILj60ELj1ELj3ELb1EL18RadixRankAlgorithm1EfEvPKT4_Pijj ; -- Begin function _Z11rank_kernelILj60ELj1ELj3ELb1EL18RadixRankAlgorithm1EfEvPKT4_Pijj
	.globl	_Z11rank_kernelILj60ELj1ELj3ELb1EL18RadixRankAlgorithm1EfEvPKT4_Pijj
	.p2align	8
	.type	_Z11rank_kernelILj60ELj1ELj3ELb1EL18RadixRankAlgorithm1EfEvPKT4_Pijj,@function
_Z11rank_kernelILj60ELj1ELj3ELb1EL18RadixRankAlgorithm1EfEvPKT4_Pijj: ; @_Z11rank_kernelILj60ELj1ELj3ELb1EL18RadixRankAlgorithm1EfEvPKT4_Pijj
; %bb.0:
	s_load_dwordx4 s[0:3], s[4:5], 0x0
	s_mul_i32 s6, s6, 60
	s_mov_b32 s7, 0
	s_lshl_b64 s[6:7], s[6:7], 2
	v_lshlrev_b32_e32 v5, 2, v0
	s_waitcnt lgkmcnt(0)
	s_add_u32 s0, s0, s6
	s_addc_u32 s1, s1, s7
	global_load_dword v1, v5, s[0:1]
	s_movk_i32 s0, 0xf0
	v_mov_b32_e32 v2, 0
	v_cmp_gt_u32_e32 vcc, s0, v0
	s_and_saveexec_b64 s[0:1], vcc
	s_cbranch_execz .LBB28_3
; %bb.1:
	v_subrev_u32_e32 v3, 60, v0
	s_mov_b64 s[8:9], 0
	s_movk_i32 s10, 0xb3
	v_mov_b32_e32 v4, v5
.LBB28_2:                               ; =>This Inner Loop Header: Depth=1
	v_add_u32_e32 v3, 60, v3
	v_cmp_lt_u32_e32 vcc, s10, v3
	ds_write_b32 v4, v2
	s_or_b64 s[8:9], vcc, s[8:9]
	v_add_u32_e32 v4, 0xf0, v4
	s_andn2_b64 exec, exec, s[8:9]
	s_cbranch_execnz .LBB28_2
.LBB28_3:
	s_or_b64 exec, exec, s[0:1]
	s_load_dwordx2 s[0:1], s[4:5], 0x10
	v_bfrev_b32_e32 v2, 1
	s_waitcnt vmcnt(0)
	v_cmp_lt_i32_e32 vcc, -1, v1
	v_cndmask_b32_e32 v3, -1, v2, vcc
	v_xor_b32_e32 v1, v3, v1
	s_brev_b32 s4, -2
	s_waitcnt lgkmcnt(0)
	s_and_b32 s1, s1, 31
	s_and_b32 s0, s0, 31
	v_cmp_ne_u32_e32 vcc, s4, v1
	s_add_i32 s0, s0, s1
	v_cndmask_b32_e32 v1, v2, v1, vcc
	s_sub_i32 s0, 32, s0
	v_lshlrev_b32_e32 v1, s0, v1
	s_sub_i32 s0, 32, s1
	v_lshrrev_b32_e32 v1, s0, v1
	s_cmp_lg_u32 s1, 0
	v_xor_b32_e32 v1, 7, v1
	s_cselect_b64 vcc, -1, 0
	v_cndmask_b32_e32 v1, 7, v1, vcc
	v_and_b32_e32 v2, 3, v1
	v_lshrrev_b32_e32 v1, 1, v1
	v_mad_u32_u24 v2, v2, 60, v0
	v_and_b32_e32 v1, 0x7ffffffe, v1
	v_lshl_add_u32 v6, v2, 2, v1
	ds_read_u16 v7, v6
	v_lshlrev_b32_e32 v8, 4, v0
	s_waitcnt lgkmcnt(0)
	v_add_u16_e32 v1, 1, v7
	ds_write_b16 v6, v1
	s_waitcnt lgkmcnt(0)
	; wave barrier
	ds_read_b128 v[1:4], v8
	s_waitcnt lgkmcnt(0)
	v_add_u32_e32 v9, v2, v1
	v_add3_u32 v9, v9, v3, v4
	v_mbcnt_lo_u32_b32 v4, -1, 0
	v_mbcnt_hi_u32_b32 v4, -1, v4
	v_and_b32_e32 v10, 15, v4
	v_mov_b32_dpp v11, v9 row_shr:1 row_mask:0xf bank_mask:0xf
	v_cmp_ne_u32_e32 vcc, 0, v10
	v_cndmask_b32_e32 v11, 0, v11, vcc
	v_add_u32_e32 v9, v11, v9
	v_cmp_lt_u32_e32 vcc, 1, v10
	s_nop 0
	v_mov_b32_dpp v11, v9 row_shr:2 row_mask:0xf bank_mask:0xf
	v_cndmask_b32_e32 v11, 0, v11, vcc
	v_add_u32_e32 v9, v9, v11
	v_cmp_lt_u32_e32 vcc, 3, v10
	s_nop 0
	v_mov_b32_dpp v11, v9 row_shr:4 row_mask:0xf bank_mask:0xf
	;; [unrolled: 5-line block ×3, first 2 shown]
	v_cndmask_b32_e32 v10, 0, v11, vcc
	v_add_u32_e32 v9, v9, v10
	v_bfe_i32 v11, v4, 4, 1
	v_cmp_lt_u32_e32 vcc, 31, v4
	v_mov_b32_dpp v10, v9 row_bcast:15 row_mask:0xf bank_mask:0xf
	v_and_b32_e32 v10, v11, v10
	v_add_u32_e32 v9, v9, v10
	s_nop 1
	v_mov_b32_dpp v10, v9 row_bcast:31 row_mask:0xf bank_mask:0xf
	v_cndmask_b32_e32 v10, 0, v10, vcc
	v_add_u32_e32 v9, v9, v10
	v_cmp_eq_u32_e32 vcc, 59, v0
	s_and_saveexec_b64 s[0:1], vcc
; %bb.4:
	v_mov_b32_e32 v0, 0
	ds_write_b32 v0, v9 offset:960
; %bb.5:
	s_or_b64 exec, exec, s[0:1]
	v_subrev_co_u32_e32 v0, vcc, 1, v4
	v_and_b32_e32 v10, 64, v4
	v_cmp_lt_i32_e64 s[0:1], v0, v10
	v_cndmask_b32_e64 v0, v0, v4, s[0:1]
	v_lshlrev_b32_e32 v0, 2, v0
	ds_bpermute_b32 v0, v0, v9
	v_mov_b32_e32 v4, 0
	s_waitcnt lgkmcnt(0)
	; wave barrier
	ds_read_b32 v4, v4 offset:960
	v_cndmask_b32_e64 v0, v0, 0, vcc
	s_add_u32 s0, s2, s6
	s_addc_u32 s1, s3, s7
	s_waitcnt lgkmcnt(0)
	v_lshl_add_u32 v0, v4, 16, v0
	v_add_u32_e32 v1, v0, v1
	v_add_u32_e32 v2, v1, v2
	;; [unrolled: 1-line block ×3, first 2 shown]
	ds_write_b128 v8, v[0:3]
	s_waitcnt lgkmcnt(0)
	; wave barrier
	ds_read_u16 v0, v6
	s_waitcnt lgkmcnt(0)
	v_add_u32_sdwa v0, v0, v7 dst_sel:DWORD dst_unused:UNUSED_PAD src0_sel:DWORD src1_sel:WORD_0
	global_store_dword v5, v0, s[0:1]
	s_endpgm
	.section	.rodata,"a",@progbits
	.p2align	6, 0x0
	.amdhsa_kernel _Z11rank_kernelILj60ELj1ELj3ELb1EL18RadixRankAlgorithm1EfEvPKT4_Pijj
		.amdhsa_group_segment_fixed_size 976
		.amdhsa_private_segment_fixed_size 0
		.amdhsa_kernarg_size 24
		.amdhsa_user_sgpr_count 6
		.amdhsa_user_sgpr_private_segment_buffer 1
		.amdhsa_user_sgpr_dispatch_ptr 0
		.amdhsa_user_sgpr_queue_ptr 0
		.amdhsa_user_sgpr_kernarg_segment_ptr 1
		.amdhsa_user_sgpr_dispatch_id 0
		.amdhsa_user_sgpr_flat_scratch_init 0
		.amdhsa_user_sgpr_private_segment_size 0
		.amdhsa_uses_dynamic_stack 0
		.amdhsa_system_sgpr_private_segment_wavefront_offset 0
		.amdhsa_system_sgpr_workgroup_id_x 1
		.amdhsa_system_sgpr_workgroup_id_y 0
		.amdhsa_system_sgpr_workgroup_id_z 0
		.amdhsa_system_sgpr_workgroup_info 0
		.amdhsa_system_vgpr_workitem_id 0
		.amdhsa_next_free_vgpr 12
		.amdhsa_next_free_sgpr 11
		.amdhsa_reserve_vcc 1
		.amdhsa_reserve_flat_scratch 0
		.amdhsa_float_round_mode_32 0
		.amdhsa_float_round_mode_16_64 0
		.amdhsa_float_denorm_mode_32 3
		.amdhsa_float_denorm_mode_16_64 3
		.amdhsa_dx10_clamp 1
		.amdhsa_ieee_mode 1
		.amdhsa_fp16_overflow 0
		.amdhsa_exception_fp_ieee_invalid_op 0
		.amdhsa_exception_fp_denorm_src 0
		.amdhsa_exception_fp_ieee_div_zero 0
		.amdhsa_exception_fp_ieee_overflow 0
		.amdhsa_exception_fp_ieee_underflow 0
		.amdhsa_exception_fp_ieee_inexact 0
		.amdhsa_exception_int_div_zero 0
	.end_amdhsa_kernel
	.section	.text._Z11rank_kernelILj60ELj1ELj3ELb1EL18RadixRankAlgorithm1EfEvPKT4_Pijj,"axG",@progbits,_Z11rank_kernelILj60ELj1ELj3ELb1EL18RadixRankAlgorithm1EfEvPKT4_Pijj,comdat
.Lfunc_end28:
	.size	_Z11rank_kernelILj60ELj1ELj3ELb1EL18RadixRankAlgorithm1EfEvPKT4_Pijj, .Lfunc_end28-_Z11rank_kernelILj60ELj1ELj3ELb1EL18RadixRankAlgorithm1EfEvPKT4_Pijj
                                        ; -- End function
	.set _Z11rank_kernelILj60ELj1ELj3ELb1EL18RadixRankAlgorithm1EfEvPKT4_Pijj.num_vgpr, 12
	.set _Z11rank_kernelILj60ELj1ELj3ELb1EL18RadixRankAlgorithm1EfEvPKT4_Pijj.num_agpr, 0
	.set _Z11rank_kernelILj60ELj1ELj3ELb1EL18RadixRankAlgorithm1EfEvPKT4_Pijj.numbered_sgpr, 11
	.set _Z11rank_kernelILj60ELj1ELj3ELb1EL18RadixRankAlgorithm1EfEvPKT4_Pijj.num_named_barrier, 0
	.set _Z11rank_kernelILj60ELj1ELj3ELb1EL18RadixRankAlgorithm1EfEvPKT4_Pijj.private_seg_size, 0
	.set _Z11rank_kernelILj60ELj1ELj3ELb1EL18RadixRankAlgorithm1EfEvPKT4_Pijj.uses_vcc, 1
	.set _Z11rank_kernelILj60ELj1ELj3ELb1EL18RadixRankAlgorithm1EfEvPKT4_Pijj.uses_flat_scratch, 0
	.set _Z11rank_kernelILj60ELj1ELj3ELb1EL18RadixRankAlgorithm1EfEvPKT4_Pijj.has_dyn_sized_stack, 0
	.set _Z11rank_kernelILj60ELj1ELj3ELb1EL18RadixRankAlgorithm1EfEvPKT4_Pijj.has_recursion, 0
	.set _Z11rank_kernelILj60ELj1ELj3ELb1EL18RadixRankAlgorithm1EfEvPKT4_Pijj.has_indirect_call, 0
	.section	.AMDGPU.csdata,"",@progbits
; Kernel info:
; codeLenInByte = 616
; TotalNumSgprs: 15
; NumVgprs: 12
; ScratchSize: 0
; MemoryBound: 0
; FloatMode: 240
; IeeeMode: 1
; LDSByteSize: 976 bytes/workgroup (compile time only)
; SGPRBlocks: 1
; VGPRBlocks: 2
; NumSGPRsForWavesPerEU: 15
; NumVGPRsForWavesPerEU: 12
; Occupancy: 10
; WaveLimiterHint : 0
; COMPUTE_PGM_RSRC2:SCRATCH_EN: 0
; COMPUTE_PGM_RSRC2:USER_SGPR: 6
; COMPUTE_PGM_RSRC2:TRAP_HANDLER: 0
; COMPUTE_PGM_RSRC2:TGID_X_EN: 1
; COMPUTE_PGM_RSRC2:TGID_Y_EN: 0
; COMPUTE_PGM_RSRC2:TGID_Z_EN: 0
; COMPUTE_PGM_RSRC2:TIDIG_COMP_CNT: 0
	.section	.text._Z11rank_kernelILj102ELj3ELj3ELb1EL18RadixRankAlgorithm1EtEvPKT4_Pijj,"axG",@progbits,_Z11rank_kernelILj102ELj3ELj3ELb1EL18RadixRankAlgorithm1EtEvPKT4_Pijj,comdat
	.protected	_Z11rank_kernelILj102ELj3ELj3ELb1EL18RadixRankAlgorithm1EtEvPKT4_Pijj ; -- Begin function _Z11rank_kernelILj102ELj3ELj3ELb1EL18RadixRankAlgorithm1EtEvPKT4_Pijj
	.globl	_Z11rank_kernelILj102ELj3ELj3ELb1EL18RadixRankAlgorithm1EtEvPKT4_Pijj
	.p2align	8
	.type	_Z11rank_kernelILj102ELj3ELj3ELb1EL18RadixRankAlgorithm1EtEvPKT4_Pijj,@function
_Z11rank_kernelILj102ELj3ELj3ELb1EL18RadixRankAlgorithm1EtEvPKT4_Pijj: ; @_Z11rank_kernelILj102ELj3ELj3ELb1EL18RadixRankAlgorithm1EtEvPKT4_Pijj
; %bb.0:
	s_load_dwordx4 s[0:3], s[4:5], 0x0
	s_mulk_i32 s6, 0x132
	s_mov_b32 s7, 0
	s_lshl_b64 s[8:9], s[6:7], 1
	v_mul_u32_u24_e32 v5, 3, v0
	s_waitcnt lgkmcnt(0)
	s_add_u32 s0, s0, s8
	s_addc_u32 s1, s1, s9
	v_lshlrev_b32_e32 v3, 1, v5
	global_load_dword v2, v3, s[0:1]
	global_load_ushort v1, v3, s[0:1] offset:4
	s_movk_i32 s0, 0x198
	v_mov_b32_e32 v3, 0
	v_cmp_gt_u32_e32 vcc, s0, v0
	s_and_saveexec_b64 s[0:1], vcc
	s_cbranch_execz .LBB29_3
; %bb.1:
	v_lshlrev_b32_e32 v4, 2, v0
	v_add_u32_e32 v6, 0xffffff9a, v0
	s_mov_b64 s[8:9], 0
	s_movk_i32 s10, 0x131
.LBB29_2:                               ; =>This Inner Loop Header: Depth=1
	v_add_u32_e32 v6, 0x66, v6
	v_cmp_lt_u32_e32 vcc, s10, v6
	ds_write_b32 v4, v3
	s_or_b64 s[8:9], vcc, s[8:9]
	v_add_u32_e32 v4, 0x198, v4
	s_andn2_b64 exec, exec, s[8:9]
	s_cbranch_execnz .LBB29_2
.LBB29_3:
	s_or_b64 exec, exec, s[0:1]
	s_load_dwordx2 s[0:1], s[4:5], 0x10
	s_movk_i32 s8, 0x66
	v_lshlrev_b32_e32 v12, 4, v0
	s_waitcnt lgkmcnt(0)
	s_and_b32 s1, s1, 31
	s_cmp_eq_u32 s1, 0
	s_cselect_b64 s[4:5], -1, 0
	s_and_b32 s0, s0, 31
	s_add_i32 s0, s0, s1
	s_sub_i32 s0, 32, s0
	s_sub_i32 s9, 32, s1
	s_waitcnt vmcnt(1)
	v_lshlrev_b32_sdwa v3, s0, v2 dst_sel:DWORD dst_unused:UNUSED_PAD src0_sel:DWORD src1_sel:WORD_0
	v_bfe_u32 v3, v3, s9, 16
	v_xor_b32_e32 v3, 7, v3
	v_cndmask_b32_e64 v3, v3, 7, s[4:5]
	v_and_b32_e32 v4, 3, v3
	v_lshrrev_b32_e32 v3, 1, v3
	v_mad_u32_u24 v4, v4, s8, v0
	v_and_b32_e32 v3, 0x7ffe, v3
	v_lshl_add_u32 v7, v4, 2, v3
	ds_read_u16 v6, v7
	v_lshlrev_b32_sdwa v2, s0, v2 dst_sel:DWORD dst_unused:UNUSED_PAD src0_sel:DWORD src1_sel:WORD_1
	v_bfe_u32 v2, v2, s9, 16
	v_xor_b32_e32 v2, 7, v2
	v_cndmask_b32_e64 v2, v2, 7, s[4:5]
	s_waitcnt lgkmcnt(0)
	v_add_u16_e32 v3, 1, v6
	ds_write_b16 v7, v3
	v_and_b32_e32 v3, 3, v2
	v_lshrrev_b32_e32 v2, 1, v2
	v_mad_u32_u24 v3, v3, s8, v0
	v_and_b32_e32 v2, 0x7ffe, v2
	v_lshl_add_u32 v9, v3, 2, v2
	ds_read_u16 v8, v9
	s_waitcnt vmcnt(0)
	v_lshlrev_b32_sdwa v1, s0, v1 dst_sel:DWORD dst_unused:UNUSED_PAD src0_sel:DWORD src1_sel:WORD_0
	v_bfe_u32 v1, v1, s9, 16
	v_xor_b32_e32 v1, 7, v1
	v_cndmask_b32_e64 v1, v1, 7, s[4:5]
	s_waitcnt lgkmcnt(0)
	v_add_u16_e32 v2, 1, v8
	ds_write_b16 v9, v2
	v_and_b32_e32 v2, 3, v1
	v_lshrrev_b32_e32 v1, 1, v1
	v_mad_u32_u24 v2, v2, s8, v0
	v_and_b32_e32 v1, 0x7ffe, v1
	v_lshl_add_u32 v11, v2, 2, v1
	ds_read_u16 v10, v11
	s_waitcnt lgkmcnt(0)
	v_add_u16_e32 v1, 1, v10
	ds_write_b16 v11, v1
	s_waitcnt lgkmcnt(0)
	s_barrier
	ds_read_b128 v[1:4], v12
	s_waitcnt lgkmcnt(0)
	v_add_u32_e32 v13, v2, v1
	v_add3_u32 v13, v13, v3, v4
	v_mbcnt_lo_u32_b32 v4, -1, 0
	v_mbcnt_hi_u32_b32 v4, -1, v4
	v_and_b32_e32 v14, 15, v4
	v_mov_b32_dpp v15, v13 row_shr:1 row_mask:0xf bank_mask:0xf
	v_cmp_ne_u32_e32 vcc, 0, v14
	v_cndmask_b32_e32 v15, 0, v15, vcc
	v_add_u32_e32 v13, v15, v13
	v_cmp_lt_u32_e32 vcc, 1, v14
	s_nop 0
	v_mov_b32_dpp v15, v13 row_shr:2 row_mask:0xf bank_mask:0xf
	v_cndmask_b32_e32 v15, 0, v15, vcc
	v_add_u32_e32 v13, v13, v15
	v_cmp_lt_u32_e32 vcc, 3, v14
	s_nop 0
	v_mov_b32_dpp v15, v13 row_shr:4 row_mask:0xf bank_mask:0xf
	;; [unrolled: 5-line block ×3, first 2 shown]
	v_cndmask_b32_e32 v14, 0, v15, vcc
	v_add_u32_e32 v13, v13, v14
	v_bfe_i32 v15, v4, 4, 1
	v_cmp_lt_u32_e32 vcc, 31, v4
	v_mov_b32_dpp v14, v13 row_bcast:15 row_mask:0xf bank_mask:0xf
	v_and_b32_e32 v14, v15, v14
	v_add_u32_e32 v13, v13, v14
	v_and_b32_e32 v15, 64, v0
	v_min_u32_e32 v15, 38, v15
	v_mov_b32_dpp v14, v13 row_bcast:31 row_mask:0xf bank_mask:0xf
	v_cndmask_b32_e32 v14, 0, v14, vcc
	v_add_u32_e32 v13, v13, v14
	v_lshrrev_b32_e32 v14, 6, v0
	v_add_u32_e32 v15, 63, v15
	v_cmp_eq_u32_e32 vcc, v0, v15
	v_lshlrev_b32_e32 v14, 2, v14
	s_and_saveexec_b64 s[0:1], vcc
; %bb.4:
	ds_write_b32 v14, v13 offset:1632
; %bb.5:
	s_or_b64 exec, exec, s[0:1]
	v_cmp_gt_u32_e32 vcc, 2, v0
	s_waitcnt lgkmcnt(0)
	s_barrier
	s_and_saveexec_b64 s[0:1], vcc
	s_cbranch_execz .LBB29_7
; %bb.6:
	v_mad_i32_i24 v15, v0, -12, v12
	ds_read_b32 v16, v15 offset:1632
	v_bfe_i32 v17, v4, 0, 1
	s_waitcnt lgkmcnt(0)
	v_mov_b32_dpp v18, v16 row_shr:1 row_mask:0xf bank_mask:0xf
	v_and_b32_e32 v17, v17, v18
	v_add_u32_e32 v16, v17, v16
	ds_write_b32 v15, v16 offset:1632
.LBB29_7:
	s_or_b64 exec, exec, s[0:1]
	v_cmp_lt_u32_e32 vcc, 63, v0
	v_mov_b32_e32 v0, 0
	v_mov_b32_e32 v15, 0
	s_waitcnt lgkmcnt(0)
	s_barrier
	s_and_saveexec_b64 s[0:1], vcc
; %bb.8:
	ds_read_b32 v15, v14 offset:1628
; %bb.9:
	s_or_b64 exec, exec, s[0:1]
	v_subrev_co_u32_e32 v14, vcc, 1, v4
	v_and_b32_e32 v16, 64, v4
	v_cmp_lt_i32_e64 s[0:1], v14, v16
	v_cndmask_b32_e64 v4, v14, v4, s[0:1]
	s_waitcnt lgkmcnt(0)
	v_add_u32_e32 v13, v15, v13
	v_lshlrev_b32_e32 v4, 2, v4
	ds_bpermute_b32 v4, v4, v13
	ds_read_b32 v0, v0 offset:1636
	s_lshl_b64 s[0:1], s[6:7], 2
	s_add_u32 s0, s2, s0
	s_addc_u32 s1, s3, s1
	s_waitcnt lgkmcnt(1)
	v_cndmask_b32_e32 v4, v4, v15, vcc
	s_waitcnt lgkmcnt(0)
	v_lshl_add_u32 v0, v0, 16, v4
	v_add_u32_e32 v1, v0, v1
	v_add_u32_e32 v2, v1, v2
	;; [unrolled: 1-line block ×3, first 2 shown]
	ds_write_b128 v12, v[0:3]
	s_waitcnt lgkmcnt(0)
	s_barrier
	ds_read_u16 v0, v7
	ds_read_u16 v1, v9
	;; [unrolled: 1-line block ×3, first 2 shown]
	v_lshlrev_b32_e32 v3, 2, v5
	s_waitcnt lgkmcnt(2)
	v_add_u32_sdwa v0, v0, v6 dst_sel:DWORD dst_unused:UNUSED_PAD src0_sel:DWORD src1_sel:WORD_0
	s_waitcnt lgkmcnt(1)
	v_add_u32_sdwa v1, v1, v8 dst_sel:DWORD dst_unused:UNUSED_PAD src0_sel:DWORD src1_sel:WORD_0
	;; [unrolled: 2-line block ×3, first 2 shown]
	global_store_dwordx3 v3, v[0:2], s[0:1]
	s_endpgm
	.section	.rodata,"a",@progbits
	.p2align	6, 0x0
	.amdhsa_kernel _Z11rank_kernelILj102ELj3ELj3ELb1EL18RadixRankAlgorithm1EtEvPKT4_Pijj
		.amdhsa_group_segment_fixed_size 1648
		.amdhsa_private_segment_fixed_size 0
		.amdhsa_kernarg_size 24
		.amdhsa_user_sgpr_count 6
		.amdhsa_user_sgpr_private_segment_buffer 1
		.amdhsa_user_sgpr_dispatch_ptr 0
		.amdhsa_user_sgpr_queue_ptr 0
		.amdhsa_user_sgpr_kernarg_segment_ptr 1
		.amdhsa_user_sgpr_dispatch_id 0
		.amdhsa_user_sgpr_flat_scratch_init 0
		.amdhsa_user_sgpr_private_segment_size 0
		.amdhsa_uses_dynamic_stack 0
		.amdhsa_system_sgpr_private_segment_wavefront_offset 0
		.amdhsa_system_sgpr_workgroup_id_x 1
		.amdhsa_system_sgpr_workgroup_id_y 0
		.amdhsa_system_sgpr_workgroup_id_z 0
		.amdhsa_system_sgpr_workgroup_info 0
		.amdhsa_system_vgpr_workitem_id 0
		.amdhsa_next_free_vgpr 19
		.amdhsa_next_free_sgpr 11
		.amdhsa_reserve_vcc 1
		.amdhsa_reserve_flat_scratch 0
		.amdhsa_float_round_mode_32 0
		.amdhsa_float_round_mode_16_64 0
		.amdhsa_float_denorm_mode_32 3
		.amdhsa_float_denorm_mode_16_64 3
		.amdhsa_dx10_clamp 1
		.amdhsa_ieee_mode 1
		.amdhsa_fp16_overflow 0
		.amdhsa_exception_fp_ieee_invalid_op 0
		.amdhsa_exception_fp_denorm_src 0
		.amdhsa_exception_fp_ieee_div_zero 0
		.amdhsa_exception_fp_ieee_overflow 0
		.amdhsa_exception_fp_ieee_underflow 0
		.amdhsa_exception_fp_ieee_inexact 0
		.amdhsa_exception_int_div_zero 0
	.end_amdhsa_kernel
	.section	.text._Z11rank_kernelILj102ELj3ELj3ELb1EL18RadixRankAlgorithm1EtEvPKT4_Pijj,"axG",@progbits,_Z11rank_kernelILj102ELj3ELj3ELb1EL18RadixRankAlgorithm1EtEvPKT4_Pijj,comdat
.Lfunc_end29:
	.size	_Z11rank_kernelILj102ELj3ELj3ELb1EL18RadixRankAlgorithm1EtEvPKT4_Pijj, .Lfunc_end29-_Z11rank_kernelILj102ELj3ELj3ELb1EL18RadixRankAlgorithm1EtEvPKT4_Pijj
                                        ; -- End function
	.set _Z11rank_kernelILj102ELj3ELj3ELb1EL18RadixRankAlgorithm1EtEvPKT4_Pijj.num_vgpr, 19
	.set _Z11rank_kernelILj102ELj3ELj3ELb1EL18RadixRankAlgorithm1EtEvPKT4_Pijj.num_agpr, 0
	.set _Z11rank_kernelILj102ELj3ELj3ELb1EL18RadixRankAlgorithm1EtEvPKT4_Pijj.numbered_sgpr, 11
	.set _Z11rank_kernelILj102ELj3ELj3ELb1EL18RadixRankAlgorithm1EtEvPKT4_Pijj.num_named_barrier, 0
	.set _Z11rank_kernelILj102ELj3ELj3ELb1EL18RadixRankAlgorithm1EtEvPKT4_Pijj.private_seg_size, 0
	.set _Z11rank_kernelILj102ELj3ELj3ELb1EL18RadixRankAlgorithm1EtEvPKT4_Pijj.uses_vcc, 1
	.set _Z11rank_kernelILj102ELj3ELj3ELb1EL18RadixRankAlgorithm1EtEvPKT4_Pijj.uses_flat_scratch, 0
	.set _Z11rank_kernelILj102ELj3ELj3ELb1EL18RadixRankAlgorithm1EtEvPKT4_Pijj.has_dyn_sized_stack, 0
	.set _Z11rank_kernelILj102ELj3ELj3ELb1EL18RadixRankAlgorithm1EtEvPKT4_Pijj.has_recursion, 0
	.set _Z11rank_kernelILj102ELj3ELj3ELb1EL18RadixRankAlgorithm1EtEvPKT4_Pijj.has_indirect_call, 0
	.section	.AMDGPU.csdata,"",@progbits
; Kernel info:
; codeLenInByte = 976
; TotalNumSgprs: 15
; NumVgprs: 19
; ScratchSize: 0
; MemoryBound: 0
; FloatMode: 240
; IeeeMode: 1
; LDSByteSize: 1648 bytes/workgroup (compile time only)
; SGPRBlocks: 1
; VGPRBlocks: 4
; NumSGPRsForWavesPerEU: 15
; NumVGPRsForWavesPerEU: 19
; Occupancy: 10
; WaveLimiterHint : 0
; COMPUTE_PGM_RSRC2:SCRATCH_EN: 0
; COMPUTE_PGM_RSRC2:USER_SGPR: 6
; COMPUTE_PGM_RSRC2:TRAP_HANDLER: 0
; COMPUTE_PGM_RSRC2:TGID_X_EN: 1
; COMPUTE_PGM_RSRC2:TGID_Y_EN: 0
; COMPUTE_PGM_RSRC2:TGID_Z_EN: 0
; COMPUTE_PGM_RSRC2:TIDIG_COMP_CNT: 0
	.section	.text._Z11rank_kernelILj64ELj1ELj5ELb0EL18RadixRankAlgorithm1EyEvPKT4_Pijj,"axG",@progbits,_Z11rank_kernelILj64ELj1ELj5ELb0EL18RadixRankAlgorithm1EyEvPKT4_Pijj,comdat
	.protected	_Z11rank_kernelILj64ELj1ELj5ELb0EL18RadixRankAlgorithm1EyEvPKT4_Pijj ; -- Begin function _Z11rank_kernelILj64ELj1ELj5ELb0EL18RadixRankAlgorithm1EyEvPKT4_Pijj
	.globl	_Z11rank_kernelILj64ELj1ELj5ELb0EL18RadixRankAlgorithm1EyEvPKT4_Pijj
	.p2align	8
	.type	_Z11rank_kernelILj64ELj1ELj5ELb0EL18RadixRankAlgorithm1EyEvPKT4_Pijj,@function
_Z11rank_kernelILj64ELj1ELj5ELb0EL18RadixRankAlgorithm1EyEvPKT4_Pijj: ; @_Z11rank_kernelILj64ELj1ELj5ELb0EL18RadixRankAlgorithm1EyEvPKT4_Pijj
; %bb.0:
	s_load_dwordx4 s[0:3], s[4:5], 0x0
	s_lshl_b32 s6, s6, 6
	s_mov_b32 s7, 0
	s_lshl_b64 s[8:9], s[6:7], 3
	v_lshlrev_b32_e32 v1, 3, v0
	s_waitcnt lgkmcnt(0)
	s_add_u32 s0, s0, s8
	s_addc_u32 s1, s1, s9
	global_load_dwordx2 v[1:2], v1, s[0:1]
	v_mov_b32_e32 v3, 0
	v_lshlrev_b32_e32 v4, 2, v0
	v_or_b32_e32 v5, 0xffffffc0, v0
	s_mov_b64 s[0:1], 0
	s_movk_i32 s8, 0x3bf
.LBB30_1:                               ; =>This Inner Loop Header: Depth=1
	v_add_u32_e32 v5, 64, v5
	v_cmp_lt_u32_e32 vcc, s8, v5
	ds_write_b32 v4, v3
	s_or_b64 s[0:1], vcc, s[0:1]
	v_add_u32_e32 v4, 0x100, v4
	s_andn2_b64 exec, exec, s[0:1]
	s_cbranch_execnz .LBB30_1
; %bb.2:
	s_or_b64 exec, exec, s[0:1]
	s_load_dwordx2 s[0:1], s[4:5], 0x10
	s_waitcnt lgkmcnt(0)
	s_and_b32 s1, s1, 63
	s_cmp_lg_u32 s1, 0
	s_cbranch_scc0 .LBB30_4
; %bb.3:
	s_and_b32 s0, s0, 63
	s_add_i32 s0, s0, s1
	s_sub_i32 s0, 64, s0
	s_waitcnt vmcnt(0)
	v_lshlrev_b64 v[1:2], s0, v[1:2]
	s_sub_i32 s0, 64, s1
	v_lshrrev_b64 v[1:2], s0, v[1:2]
	s_branch .LBB30_5
.LBB30_4:
	s_waitcnt vmcnt(0)
	v_mov_b32_e32 v1, 0
.LBB30_5:
	v_lshlrev_b32_e32 v2, 6, v1
	s_movk_i32 s0, 0x3c0
	v_lshrrev_b32_e32 v1, 3, v1
	v_and_or_b32 v2, v2, s0, v0
	v_and_b32_e32 v1, 0x1ffffffe, v1
	v_lshl_add_u32 v17, v2, 2, v1
	ds_read_u16 v18, v17
	v_lshlrev_b32_e32 v19, 6, v0
	s_waitcnt lgkmcnt(0)
	v_add_u16_e32 v1, 1, v18
	ds_write_b16 v17, v1
	s_waitcnt lgkmcnt(0)
	; wave barrier
	ds_read_b128 v[13:16], v19
	ds_read_b128 v[9:12], v19 offset:16
	ds_read_b128 v[5:8], v19 offset:32
	;; [unrolled: 1-line block ×3, first 2 shown]
	s_waitcnt lgkmcnt(3)
	v_add_u32_e32 v20, v14, v13
	v_add3_u32 v20, v20, v15, v16
	s_waitcnt lgkmcnt(2)
	v_add3_u32 v20, v20, v9, v10
	v_add3_u32 v20, v20, v11, v12
	s_waitcnt lgkmcnt(1)
	v_add3_u32 v20, v20, v5, v6
	;; [unrolled: 3-line block ×3, first 2 shown]
	v_add3_u32 v20, v20, v3, v4
	v_mbcnt_lo_u32_b32 v4, -1, 0
	v_mbcnt_hi_u32_b32 v4, -1, v4
	v_and_b32_e32 v21, 15, v4
	v_mov_b32_dpp v22, v20 row_shr:1 row_mask:0xf bank_mask:0xf
	v_cmp_ne_u32_e32 vcc, 0, v21
	v_cndmask_b32_e32 v22, 0, v22, vcc
	v_add_u32_e32 v20, v22, v20
	v_cmp_lt_u32_e32 vcc, 1, v21
	s_nop 0
	v_mov_b32_dpp v22, v20 row_shr:2 row_mask:0xf bank_mask:0xf
	v_cndmask_b32_e32 v22, 0, v22, vcc
	v_add_u32_e32 v20, v20, v22
	v_cmp_lt_u32_e32 vcc, 3, v21
	s_nop 0
	v_mov_b32_dpp v22, v20 row_shr:4 row_mask:0xf bank_mask:0xf
	;; [unrolled: 5-line block ×3, first 2 shown]
	v_cndmask_b32_e32 v21, 0, v22, vcc
	v_add_u32_e32 v20, v20, v21
	v_bfe_i32 v22, v4, 4, 1
	v_cmp_lt_u32_e32 vcc, 31, v4
	v_mov_b32_dpp v21, v20 row_bcast:15 row_mask:0xf bank_mask:0xf
	v_and_b32_e32 v21, v22, v21
	v_add_u32_e32 v20, v20, v21
	s_nop 1
	v_mov_b32_dpp v21, v20 row_bcast:31 row_mask:0xf bank_mask:0xf
	v_cndmask_b32_e32 v21, 0, v21, vcc
	v_add_u32_e32 v20, v20, v21
	v_cmp_eq_u32_e32 vcc, 63, v0
	s_and_saveexec_b64 s[0:1], vcc
; %bb.6:
	v_mov_b32_e32 v21, 0
	ds_write_b32 v21, v20 offset:4096
; %bb.7:
	s_or_b64 exec, exec, s[0:1]
	v_subrev_co_u32_e32 v21, vcc, 1, v4
	v_and_b32_e32 v22, 64, v4
	v_cmp_lt_i32_e64 s[0:1], v21, v22
	v_cndmask_b32_e64 v4, v21, v4, s[0:1]
	v_lshlrev_b32_e32 v4, 2, v4
	ds_bpermute_b32 v4, v4, v20
	v_mov_b32_e32 v20, 0
	s_waitcnt lgkmcnt(0)
	; wave barrier
	ds_read_b32 v20, v20 offset:4096
	v_cndmask_b32_e64 v4, v4, 0, vcc
	s_lshl_b64 s[0:1], s[6:7], 2
	s_add_u32 s0, s2, s0
	s_addc_u32 s1, s3, s1
	s_waitcnt lgkmcnt(0)
	v_lshl_add_u32 v20, v20, 16, v4
	v_add_u32_e32 v21, v20, v13
	v_add_u32_e32 v22, v21, v14
	;; [unrolled: 1-line block ×15, first 2 shown]
	ds_write_b128 v19, v[20:23]
	ds_write_b128 v19, v[13:16] offset:16
	ds_write_b128 v19, v[4:7] offset:32
	;; [unrolled: 1-line block ×3, first 2 shown]
	s_waitcnt lgkmcnt(0)
	; wave barrier
	ds_read_u16 v1, v17
	v_lshlrev_b32_e32 v0, 2, v0
	s_waitcnt lgkmcnt(0)
	v_add_u32_sdwa v1, v1, v18 dst_sel:DWORD dst_unused:UNUSED_PAD src0_sel:DWORD src1_sel:WORD_0
	global_store_dword v0, v1, s[0:1]
	s_endpgm
	.section	.rodata,"a",@progbits
	.p2align	6, 0x0
	.amdhsa_kernel _Z11rank_kernelILj64ELj1ELj5ELb0EL18RadixRankAlgorithm1EyEvPKT4_Pijj
		.amdhsa_group_segment_fixed_size 4112
		.amdhsa_private_segment_fixed_size 0
		.amdhsa_kernarg_size 24
		.amdhsa_user_sgpr_count 6
		.amdhsa_user_sgpr_private_segment_buffer 1
		.amdhsa_user_sgpr_dispatch_ptr 0
		.amdhsa_user_sgpr_queue_ptr 0
		.amdhsa_user_sgpr_kernarg_segment_ptr 1
		.amdhsa_user_sgpr_dispatch_id 0
		.amdhsa_user_sgpr_flat_scratch_init 0
		.amdhsa_user_sgpr_private_segment_size 0
		.amdhsa_uses_dynamic_stack 0
		.amdhsa_system_sgpr_private_segment_wavefront_offset 0
		.amdhsa_system_sgpr_workgroup_id_x 1
		.amdhsa_system_sgpr_workgroup_id_y 0
		.amdhsa_system_sgpr_workgroup_id_z 0
		.amdhsa_system_sgpr_workgroup_info 0
		.amdhsa_system_vgpr_workitem_id 0
		.amdhsa_next_free_vgpr 49
		.amdhsa_next_free_sgpr 98
		.amdhsa_reserve_vcc 1
		.amdhsa_reserve_flat_scratch 0
		.amdhsa_float_round_mode_32 0
		.amdhsa_float_round_mode_16_64 0
		.amdhsa_float_denorm_mode_32 3
		.amdhsa_float_denorm_mode_16_64 3
		.amdhsa_dx10_clamp 1
		.amdhsa_ieee_mode 1
		.amdhsa_fp16_overflow 0
		.amdhsa_exception_fp_ieee_invalid_op 0
		.amdhsa_exception_fp_denorm_src 0
		.amdhsa_exception_fp_ieee_div_zero 0
		.amdhsa_exception_fp_ieee_overflow 0
		.amdhsa_exception_fp_ieee_underflow 0
		.amdhsa_exception_fp_ieee_inexact 0
		.amdhsa_exception_int_div_zero 0
	.end_amdhsa_kernel
	.section	.text._Z11rank_kernelILj64ELj1ELj5ELb0EL18RadixRankAlgorithm1EyEvPKT4_Pijj,"axG",@progbits,_Z11rank_kernelILj64ELj1ELj5ELb0EL18RadixRankAlgorithm1EyEvPKT4_Pijj,comdat
.Lfunc_end30:
	.size	_Z11rank_kernelILj64ELj1ELj5ELb0EL18RadixRankAlgorithm1EyEvPKT4_Pijj, .Lfunc_end30-_Z11rank_kernelILj64ELj1ELj5ELb0EL18RadixRankAlgorithm1EyEvPKT4_Pijj
                                        ; -- End function
	.set _Z11rank_kernelILj64ELj1ELj5ELb0EL18RadixRankAlgorithm1EyEvPKT4_Pijj.num_vgpr, 24
	.set _Z11rank_kernelILj64ELj1ELj5ELb0EL18RadixRankAlgorithm1EyEvPKT4_Pijj.num_agpr, 0
	.set _Z11rank_kernelILj64ELj1ELj5ELb0EL18RadixRankAlgorithm1EyEvPKT4_Pijj.numbered_sgpr, 10
	.set _Z11rank_kernelILj64ELj1ELj5ELb0EL18RadixRankAlgorithm1EyEvPKT4_Pijj.num_named_barrier, 0
	.set _Z11rank_kernelILj64ELj1ELj5ELb0EL18RadixRankAlgorithm1EyEvPKT4_Pijj.private_seg_size, 0
	.set _Z11rank_kernelILj64ELj1ELj5ELb0EL18RadixRankAlgorithm1EyEvPKT4_Pijj.uses_vcc, 1
	.set _Z11rank_kernelILj64ELj1ELj5ELb0EL18RadixRankAlgorithm1EyEvPKT4_Pijj.uses_flat_scratch, 0
	.set _Z11rank_kernelILj64ELj1ELj5ELb0EL18RadixRankAlgorithm1EyEvPKT4_Pijj.has_dyn_sized_stack, 0
	.set _Z11rank_kernelILj64ELj1ELj5ELb0EL18RadixRankAlgorithm1EyEvPKT4_Pijj.has_recursion, 0
	.set _Z11rank_kernelILj64ELj1ELj5ELb0EL18RadixRankAlgorithm1EyEvPKT4_Pijj.has_indirect_call, 0
	.section	.AMDGPU.csdata,"",@progbits
; Kernel info:
; codeLenInByte = 756
; TotalNumSgprs: 14
; NumVgprs: 24
; ScratchSize: 0
; MemoryBound: 0
; FloatMode: 240
; IeeeMode: 1
; LDSByteSize: 4112 bytes/workgroup (compile time only)
; SGPRBlocks: 12
; VGPRBlocks: 12
; NumSGPRsForWavesPerEU: 102
; NumVGPRsForWavesPerEU: 49
; Occupancy: 4
; WaveLimiterHint : 0
; COMPUTE_PGM_RSRC2:SCRATCH_EN: 0
; COMPUTE_PGM_RSRC2:USER_SGPR: 6
; COMPUTE_PGM_RSRC2:TRAP_HANDLER: 0
; COMPUTE_PGM_RSRC2:TGID_X_EN: 1
; COMPUTE_PGM_RSRC2:TGID_Y_EN: 0
; COMPUTE_PGM_RSRC2:TGID_Z_EN: 0
; COMPUTE_PGM_RSRC2:TIDIG_COMP_CNT: 0
	.section	.text._Z11rank_kernelILj234ELj9ELj4ELb0EL18RadixRankAlgorithm1E12hip_bfloat16EvPKT4_Pijj,"axG",@progbits,_Z11rank_kernelILj234ELj9ELj4ELb0EL18RadixRankAlgorithm1E12hip_bfloat16EvPKT4_Pijj,comdat
	.protected	_Z11rank_kernelILj234ELj9ELj4ELb0EL18RadixRankAlgorithm1E12hip_bfloat16EvPKT4_Pijj ; -- Begin function _Z11rank_kernelILj234ELj9ELj4ELb0EL18RadixRankAlgorithm1E12hip_bfloat16EvPKT4_Pijj
	.globl	_Z11rank_kernelILj234ELj9ELj4ELb0EL18RadixRankAlgorithm1E12hip_bfloat16EvPKT4_Pijj
	.p2align	8
	.type	_Z11rank_kernelILj234ELj9ELj4ELb0EL18RadixRankAlgorithm1E12hip_bfloat16EvPKT4_Pijj,@function
_Z11rank_kernelILj234ELj9ELj4ELb0EL18RadixRankAlgorithm1E12hip_bfloat16EvPKT4_Pijj: ; @_Z11rank_kernelILj234ELj9ELj4ELb0EL18RadixRankAlgorithm1E12hip_bfloat16EvPKT4_Pijj
; %bb.0:
	s_load_dwordx4 s[0:3], s[4:5], 0x0
	s_mulk_i32 s6, 0x83a
	s_mov_b32 s7, 0
	s_lshl_b64 s[8:9], s[6:7], 1
	v_mul_u32_u24_e32 v9, 9, v0
	s_waitcnt lgkmcnt(0)
	s_add_u32 s0, s0, s8
	s_addc_u32 s1, s1, s9
	v_lshlrev_b32_e32 v6, 1, v9
	global_load_dwordx4 v[1:4], v6, s[0:1]
	global_load_ushort v5, v6, s[0:1] offset:16
	v_lshlrev_b32_e32 v6, 2, v0
	s_movk_i32 s0, 0x3a8
	v_mov_b32_e32 v7, 0
	v_add_u32_e32 v8, 0x700, v6
	v_cmp_gt_u32_e32 vcc, s0, v0
	ds_write2_b32 v6, v7, v7 offset1:234
	ds_write2_b32 v8, v7, v7 offset0:20 offset1:254
	s_and_saveexec_b64 s[0:1], vcc
	s_cbranch_execz .LBB31_5
; %bb.1:
	s_movk_i32 s8, 0x2be
	v_cmp_gt_u32_e32 vcc, s8, v0
	ds_write_b32 v6, v7 offset:3744
	s_and_b64 exec, exec, vcc
	s_cbranch_execz .LBB31_5
; %bb.2:
	s_movk_i32 s8, 0x1d4
	v_mov_b32_e32 v7, 0
	v_cmp_gt_u32_e32 vcc, s8, v0
	ds_write_b32 v6, v7 offset:4680
	s_and_b64 exec, exec, vcc
	s_cbranch_execz .LBB31_5
; %bb.3:
	s_movk_i32 s8, 0xea
	v_cmp_gt_u32_e32 vcc, s8, v0
	ds_write_b32 v6, v7 offset:5616
	s_and_b64 exec, exec, vcc
; %bb.4:
	v_mov_b32_e32 v7, 0
	ds_write_b32 v6, v7 offset:6552
.LBB31_5:
	s_or_b64 exec, exec, s[0:1]
	s_load_dwordx2 s[4:5], s[4:5], 0x10
	v_mov_b32_e32 v6, 0xffff8000
	s_waitcnt vmcnt(1)
	v_cmp_lt_i16_e32 vcc, -1, v1
	v_cndmask_b32_e32 v7, -1, v6, vcc
	v_xor_b32_e32 v7, v7, v1
	s_waitcnt lgkmcnt(0)
	s_and_b32 s5, s5, 31
	s_cmp_eq_u32 s5, 0
	s_cselect_b64 s[0:1], -1, 0
	s_and_b32 s4, s4, 31
	s_movk_i32 s8, 0x7fff
	s_add_i32 s4, s4, s5
	v_cmp_ne_u16_e32 vcc, s8, v7
	s_sub_i32 s4, 32, s4
	v_cndmask_b32_e32 v7, v6, v7, vcc
	s_sub_i32 s5, 32, s5
	v_lshlrev_b32_sdwa v7, s4, v7 dst_sel:DWORD dst_unused:UNUSED_PAD src0_sel:DWORD src1_sel:WORD_0
	v_bfe_u32 v7, v7, s5, 16
	v_cndmask_b32_e64 v7, v7, 0, s[0:1]
	v_and_b32_e32 v8, 7, v7
	s_movk_i32 s9, 0xea
	v_lshrrev_b32_e32 v7, 2, v7
	v_mad_u32_u24 v8, v8, s9, v0
	v_and_b32_e32 v7, 0x3ffe, v7
	v_lshl_add_u32 v11, v8, 2, v7
	v_mov_b32_e32 v7, -1
	v_cmp_gt_i16_sdwa vcc, v1, v7 src0_sel:WORD_1 src1_sel:DWORD
	v_cndmask_b32_e32 v8, -1, v6, vcc
	ds_read_u16 v10, v11
	v_xor_b32_sdwa v1, v8, v1 dst_sel:DWORD dst_unused:UNUSED_PAD src0_sel:DWORD src1_sel:WORD_1
	v_cmp_ne_u16_e32 vcc, s8, v1
	v_cndmask_b32_e32 v1, v6, v1, vcc
	v_lshlrev_b32_sdwa v1, s4, v1 dst_sel:DWORD dst_unused:UNUSED_PAD src0_sel:DWORD src1_sel:WORD_0
	v_bfe_u32 v1, v1, s5, 16
	s_waitcnt lgkmcnt(0)
	v_add_u16_e32 v8, 1, v10
	v_cndmask_b32_e64 v1, v1, 0, s[0:1]
	ds_write_b16 v11, v8
	v_and_b32_e32 v8, 7, v1
	v_lshrrev_b32_e32 v1, 2, v1
	v_mad_u32_u24 v8, v8, s9, v0
	v_and_b32_e32 v1, 0x3ffe, v1
	v_cmp_lt_i16_e32 vcc, -1, v2
	v_lshl_add_u32 v13, v8, 2, v1
	v_cndmask_b32_e32 v1, -1, v6, vcc
	ds_read_u16 v12, v13
	v_xor_b32_e32 v1, v1, v2
	v_cmp_ne_u16_e32 vcc, s8, v1
	v_cndmask_b32_e32 v1, v6, v1, vcc
	v_lshlrev_b32_sdwa v1, s4, v1 dst_sel:DWORD dst_unused:UNUSED_PAD src0_sel:DWORD src1_sel:WORD_0
	v_bfe_u32 v1, v1, s5, 16
	s_waitcnt lgkmcnt(0)
	v_add_u16_e32 v8, 1, v12
	v_cndmask_b32_e64 v1, v1, 0, s[0:1]
	ds_write_b16 v13, v8
	v_and_b32_e32 v8, 7, v1
	v_lshrrev_b32_e32 v1, 2, v1
	v_mad_u32_u24 v8, v8, s9, v0
	v_and_b32_e32 v1, 0x3ffe, v1
	v_cmp_gt_i16_sdwa vcc, v2, v7 src0_sel:WORD_1 src1_sel:DWORD
	v_lshl_add_u32 v15, v8, 2, v1
	v_cndmask_b32_e32 v1, -1, v6, vcc
	ds_read_u16 v14, v15
	v_xor_b32_sdwa v1, v1, v2 dst_sel:DWORD dst_unused:UNUSED_PAD src0_sel:DWORD src1_sel:WORD_1
	v_cmp_ne_u16_e32 vcc, s8, v1
	v_cndmask_b32_e32 v1, v6, v1, vcc
	v_lshlrev_b32_sdwa v1, s4, v1 dst_sel:DWORD dst_unused:UNUSED_PAD src0_sel:DWORD src1_sel:WORD_0
	v_bfe_u32 v1, v1, s5, 16
	s_waitcnt lgkmcnt(0)
	v_add_u16_e32 v2, 1, v14
	v_cndmask_b32_e64 v1, v1, 0, s[0:1]
	ds_write_b16 v15, v2
	v_and_b32_e32 v2, 7, v1
	v_lshrrev_b32_e32 v1, 2, v1
	v_mad_u32_u24 v2, v2, s9, v0
	v_and_b32_e32 v1, 0x3ffe, v1
	v_cmp_lt_i16_e32 vcc, -1, v3
	v_lshl_add_u32 v17, v2, 2, v1
	v_cndmask_b32_e32 v1, -1, v6, vcc
	ds_read_u16 v16, v17
	v_xor_b32_e32 v1, v1, v3
	v_cmp_ne_u16_e32 vcc, s8, v1
	v_cndmask_b32_e32 v1, v6, v1, vcc
	v_lshlrev_b32_sdwa v1, s4, v1 dst_sel:DWORD dst_unused:UNUSED_PAD src0_sel:DWORD src1_sel:WORD_0
	v_bfe_u32 v1, v1, s5, 16
	s_waitcnt lgkmcnt(0)
	v_add_u16_e32 v2, 1, v16
	v_cndmask_b32_e64 v1, v1, 0, s[0:1]
	ds_write_b16 v17, v2
	v_and_b32_e32 v2, 7, v1
	v_lshrrev_b32_e32 v1, 2, v1
	v_mad_u32_u24 v2, v2, s9, v0
	v_and_b32_e32 v1, 0x3ffe, v1
	v_cmp_gt_i16_sdwa vcc, v3, v7 src0_sel:WORD_1 src1_sel:DWORD
	v_lshl_add_u32 v19, v2, 2, v1
	;; [unrolled: 34-line block ×3, first 2 shown]
	v_cndmask_b32_e32 v1, -1, v6, vcc
	ds_read_u16 v22, v23
	v_xor_b32_sdwa v1, v1, v4 dst_sel:DWORD dst_unused:UNUSED_PAD src0_sel:DWORD src1_sel:WORD_1
	v_cmp_ne_u16_e32 vcc, s8, v1
	v_cndmask_b32_e32 v1, v6, v1, vcc
	v_lshlrev_b32_sdwa v1, s4, v1 dst_sel:DWORD dst_unused:UNUSED_PAD src0_sel:DWORD src1_sel:WORD_0
	v_bfe_u32 v1, v1, s5, 16
	s_waitcnt lgkmcnt(0)
	v_add_u16_e32 v2, 1, v22
	v_cndmask_b32_e64 v1, v1, 0, s[0:1]
	ds_write_b16 v23, v2
	v_and_b32_e32 v2, 7, v1
	v_lshrrev_b32_e32 v1, 2, v1
	v_mad_u32_u24 v2, v2, s9, v0
	v_and_b32_e32 v1, 0x3ffe, v1
	s_waitcnt vmcnt(0)
	v_cmp_lt_i16_e32 vcc, -1, v5
	v_lshl_add_u32 v25, v2, 2, v1
	v_cndmask_b32_e32 v1, -1, v6, vcc
	ds_read_u16 v24, v25
	v_xor_b32_e32 v1, v1, v5
	v_cmp_ne_u16_e32 vcc, s8, v1
	v_cndmask_b32_e32 v1, v6, v1, vcc
	v_lshlrev_b32_sdwa v1, s4, v1 dst_sel:DWORD dst_unused:UNUSED_PAD src0_sel:DWORD src1_sel:WORD_0
	v_bfe_u32 v1, v1, s5, 16
	s_waitcnt lgkmcnt(0)
	v_add_u16_e32 v2, 1, v24
	v_cndmask_b32_e64 v1, v1, 0, s[0:1]
	ds_write_b16 v25, v2
	v_and_b32_e32 v2, 7, v1
	v_lshrrev_b32_e32 v1, 2, v1
	v_mad_u32_u24 v2, v2, s9, v0
	v_and_b32_e32 v1, 0x3ffe, v1
	v_lshl_add_u32 v27, v2, 2, v1
	ds_read_u16 v26, v27
	v_lshlrev_b32_e32 v28, 5, v0
	s_waitcnt lgkmcnt(0)
	v_add_u16_e32 v1, 1, v26
	ds_write_b16 v27, v1
	s_waitcnt lgkmcnt(0)
	s_barrier
	ds_read_b128 v[5:8], v28
	ds_read_b128 v[1:4], v28 offset:16
	s_waitcnt lgkmcnt(1)
	v_add_u32_e32 v29, v6, v5
	v_add3_u32 v29, v29, v7, v8
	s_waitcnt lgkmcnt(0)
	v_add3_u32 v29, v29, v1, v2
	v_add3_u32 v29, v29, v3, v4
	v_mbcnt_lo_u32_b32 v4, -1, 0
	v_mbcnt_hi_u32_b32 v4, -1, v4
	v_and_b32_e32 v30, 15, v4
	v_mov_b32_dpp v31, v29 row_shr:1 row_mask:0xf bank_mask:0xf
	v_cmp_ne_u32_e32 vcc, 0, v30
	v_cndmask_b32_e32 v31, 0, v31, vcc
	v_add_u32_e32 v29, v31, v29
	v_cmp_lt_u32_e32 vcc, 1, v30
	s_nop 0
	v_mov_b32_dpp v31, v29 row_shr:2 row_mask:0xf bank_mask:0xf
	v_cndmask_b32_e32 v31, 0, v31, vcc
	v_add_u32_e32 v29, v29, v31
	v_cmp_lt_u32_e32 vcc, 3, v30
	s_nop 0
	v_mov_b32_dpp v31, v29 row_shr:4 row_mask:0xf bank_mask:0xf
	;; [unrolled: 5-line block ×3, first 2 shown]
	v_cndmask_b32_e32 v30, 0, v31, vcc
	v_add_u32_e32 v29, v29, v30
	v_bfe_i32 v31, v4, 4, 1
	v_cmp_lt_u32_e32 vcc, 31, v4
	v_mov_b32_dpp v30, v29 row_bcast:15 row_mask:0xf bank_mask:0xf
	v_and_b32_e32 v30, v31, v30
	v_add_u32_e32 v29, v29, v30
	v_and_b32_e32 v31, 0xc0, v0
	v_min_u32_e32 v31, 0xaa, v31
	v_mov_b32_dpp v30, v29 row_bcast:31 row_mask:0xf bank_mask:0xf
	v_cndmask_b32_e32 v30, 0, v30, vcc
	v_add_u32_e32 v29, v29, v30
	v_lshrrev_b32_e32 v30, 6, v0
	v_add_u32_e32 v31, 63, v31
	v_cmp_eq_u32_e32 vcc, v0, v31
	v_lshlrev_b32_e32 v30, 2, v30
	s_and_saveexec_b64 s[0:1], vcc
; %bb.6:
	ds_write_b32 v30, v29 offset:7488
; %bb.7:
	s_or_b64 exec, exec, s[0:1]
	v_cmp_gt_u32_e32 vcc, 4, v0
	s_waitcnt lgkmcnt(0)
	s_barrier
	s_and_saveexec_b64 s[0:1], vcc
	s_cbranch_execz .LBB31_9
; %bb.8:
	s_movk_i32 s4, 0xffe4
	v_mad_i32_i24 v31, v0, s4, v28
	ds_read_b32 v32, v31 offset:7488
	v_and_b32_e32 v33, 3, v4
	v_cmp_ne_u32_e32 vcc, 0, v33
	s_waitcnt lgkmcnt(0)
	v_mov_b32_dpp v34, v32 row_shr:1 row_mask:0xf bank_mask:0xf
	v_cndmask_b32_e32 v34, 0, v34, vcc
	v_add_u32_e32 v32, v34, v32
	v_cmp_lt_u32_e32 vcc, 1, v33
	s_nop 0
	v_mov_b32_dpp v34, v32 row_shr:2 row_mask:0xf bank_mask:0xf
	v_cndmask_b32_e32 v33, 0, v34, vcc
	v_add_u32_e32 v32, v32, v33
	ds_write_b32 v31, v32 offset:7488
.LBB31_9:
	s_or_b64 exec, exec, s[0:1]
	v_cmp_lt_u32_e32 vcc, 63, v0
	v_mov_b32_e32 v0, 0
	v_mov_b32_e32 v31, 0
	s_waitcnt lgkmcnt(0)
	s_barrier
	s_and_saveexec_b64 s[0:1], vcc
; %bb.10:
	ds_read_b32 v31, v30 offset:7484
; %bb.11:
	s_or_b64 exec, exec, s[0:1]
	v_subrev_co_u32_e32 v30, vcc, 1, v4
	v_and_b32_e32 v32, 64, v4
	v_cmp_lt_i32_e64 s[0:1], v30, v32
	v_cndmask_b32_e64 v4, v30, v4, s[0:1]
	s_waitcnt lgkmcnt(0)
	v_add_u32_e32 v29, v31, v29
	v_lshlrev_b32_e32 v4, 2, v4
	ds_bpermute_b32 v4, v4, v29
	ds_read_b32 v0, v0 offset:7500
	s_lshl_b64 s[0:1], s[6:7], 2
	s_add_u32 s0, s2, s0
	s_addc_u32 s1, s3, s1
	s_waitcnt lgkmcnt(1)
	v_cndmask_b32_e32 v4, v4, v31, vcc
	s_waitcnt lgkmcnt(0)
	v_lshl_add_u32 v4, v0, 16, v4
	v_add_u32_e32 v5, v4, v5
	v_add_u32_e32 v6, v5, v6
	;; [unrolled: 1-line block ×7, first 2 shown]
	ds_write_b128 v28, v[4:7]
	ds_write_b128 v28, v[0:3] offset:16
	s_waitcnt lgkmcnt(0)
	s_barrier
	ds_read_u16 v0, v11
	ds_read_u16 v1, v13
	;; [unrolled: 1-line block ×9, first 2 shown]
	s_waitcnt lgkmcnt(8)
	v_add_u32_sdwa v0, v0, v10 dst_sel:DWORD dst_unused:UNUSED_PAD src0_sel:DWORD src1_sel:WORD_0
	s_waitcnt lgkmcnt(7)
	v_add_u32_sdwa v1, v1, v12 dst_sel:DWORD dst_unused:UNUSED_PAD src0_sel:DWORD src1_sel:WORD_0
	;; [unrolled: 2-line block ×4, first 2 shown]
	v_lshlrev_b32_e32 v9, 2, v9
	s_waitcnt lgkmcnt(4)
	v_add_u32_sdwa v4, v4, v18 dst_sel:DWORD dst_unused:UNUSED_PAD src0_sel:DWORD src1_sel:WORD_0
	s_waitcnt lgkmcnt(3)
	v_add_u32_sdwa v5, v5, v20 dst_sel:DWORD dst_unused:UNUSED_PAD src0_sel:DWORD src1_sel:WORD_0
	;; [unrolled: 2-line block ×5, first 2 shown]
	global_store_dwordx4 v9, v[0:3], s[0:1]
	global_store_dwordx4 v9, v[4:7], s[0:1] offset:16
	global_store_dword v9, v8, s[0:1] offset:32
	s_endpgm
	.section	.rodata,"a",@progbits
	.p2align	6, 0x0
	.amdhsa_kernel _Z11rank_kernelILj234ELj9ELj4ELb0EL18RadixRankAlgorithm1E12hip_bfloat16EvPKT4_Pijj
		.amdhsa_group_segment_fixed_size 8432
		.amdhsa_private_segment_fixed_size 0
		.amdhsa_kernarg_size 24
		.amdhsa_user_sgpr_count 6
		.amdhsa_user_sgpr_private_segment_buffer 1
		.amdhsa_user_sgpr_dispatch_ptr 0
		.amdhsa_user_sgpr_queue_ptr 0
		.amdhsa_user_sgpr_kernarg_segment_ptr 1
		.amdhsa_user_sgpr_dispatch_id 0
		.amdhsa_user_sgpr_flat_scratch_init 0
		.amdhsa_user_sgpr_private_segment_size 0
		.amdhsa_uses_dynamic_stack 0
		.amdhsa_system_sgpr_private_segment_wavefront_offset 0
		.amdhsa_system_sgpr_workgroup_id_x 1
		.amdhsa_system_sgpr_workgroup_id_y 0
		.amdhsa_system_sgpr_workgroup_id_z 0
		.amdhsa_system_sgpr_workgroup_info 0
		.amdhsa_system_vgpr_workitem_id 0
		.amdhsa_next_free_vgpr 35
		.amdhsa_next_free_sgpr 77
		.amdhsa_reserve_vcc 1
		.amdhsa_reserve_flat_scratch 0
		.amdhsa_float_round_mode_32 0
		.amdhsa_float_round_mode_16_64 0
		.amdhsa_float_denorm_mode_32 3
		.amdhsa_float_denorm_mode_16_64 3
		.amdhsa_dx10_clamp 1
		.amdhsa_ieee_mode 1
		.amdhsa_fp16_overflow 0
		.amdhsa_exception_fp_ieee_invalid_op 0
		.amdhsa_exception_fp_denorm_src 0
		.amdhsa_exception_fp_ieee_div_zero 0
		.amdhsa_exception_fp_ieee_overflow 0
		.amdhsa_exception_fp_ieee_underflow 0
		.amdhsa_exception_fp_ieee_inexact 0
		.amdhsa_exception_int_div_zero 0
	.end_amdhsa_kernel
	.section	.text._Z11rank_kernelILj234ELj9ELj4ELb0EL18RadixRankAlgorithm1E12hip_bfloat16EvPKT4_Pijj,"axG",@progbits,_Z11rank_kernelILj234ELj9ELj4ELb0EL18RadixRankAlgorithm1E12hip_bfloat16EvPKT4_Pijj,comdat
.Lfunc_end31:
	.size	_Z11rank_kernelILj234ELj9ELj4ELb0EL18RadixRankAlgorithm1E12hip_bfloat16EvPKT4_Pijj, .Lfunc_end31-_Z11rank_kernelILj234ELj9ELj4ELb0EL18RadixRankAlgorithm1E12hip_bfloat16EvPKT4_Pijj
                                        ; -- End function
	.set _Z11rank_kernelILj234ELj9ELj4ELb0EL18RadixRankAlgorithm1E12hip_bfloat16EvPKT4_Pijj.num_vgpr, 35
	.set _Z11rank_kernelILj234ELj9ELj4ELb0EL18RadixRankAlgorithm1E12hip_bfloat16EvPKT4_Pijj.num_agpr, 0
	.set _Z11rank_kernelILj234ELj9ELj4ELb0EL18RadixRankAlgorithm1E12hip_bfloat16EvPKT4_Pijj.numbered_sgpr, 10
	.set _Z11rank_kernelILj234ELj9ELj4ELb0EL18RadixRankAlgorithm1E12hip_bfloat16EvPKT4_Pijj.num_named_barrier, 0
	.set _Z11rank_kernelILj234ELj9ELj4ELb0EL18RadixRankAlgorithm1E12hip_bfloat16EvPKT4_Pijj.private_seg_size, 0
	.set _Z11rank_kernelILj234ELj9ELj4ELb0EL18RadixRankAlgorithm1E12hip_bfloat16EvPKT4_Pijj.uses_vcc, 1
	.set _Z11rank_kernelILj234ELj9ELj4ELb0EL18RadixRankAlgorithm1E12hip_bfloat16EvPKT4_Pijj.uses_flat_scratch, 0
	.set _Z11rank_kernelILj234ELj9ELj4ELb0EL18RadixRankAlgorithm1E12hip_bfloat16EvPKT4_Pijj.has_dyn_sized_stack, 0
	.set _Z11rank_kernelILj234ELj9ELj4ELb0EL18RadixRankAlgorithm1E12hip_bfloat16EvPKT4_Pijj.has_recursion, 0
	.set _Z11rank_kernelILj234ELj9ELj4ELb0EL18RadixRankAlgorithm1E12hip_bfloat16EvPKT4_Pijj.has_indirect_call, 0
	.section	.AMDGPU.csdata,"",@progbits
; Kernel info:
; codeLenInByte = 1948
; TotalNumSgprs: 14
; NumVgprs: 35
; ScratchSize: 0
; MemoryBound: 0
; FloatMode: 240
; IeeeMode: 1
; LDSByteSize: 8432 bytes/workgroup (compile time only)
; SGPRBlocks: 10
; VGPRBlocks: 8
; NumSGPRsForWavesPerEU: 81
; NumVGPRsForWavesPerEU: 35
; Occupancy: 7
; WaveLimiterHint : 0
; COMPUTE_PGM_RSRC2:SCRATCH_EN: 0
; COMPUTE_PGM_RSRC2:USER_SGPR: 6
; COMPUTE_PGM_RSRC2:TRAP_HANDLER: 0
; COMPUTE_PGM_RSRC2:TGID_X_EN: 1
; COMPUTE_PGM_RSRC2:TGID_Y_EN: 0
; COMPUTE_PGM_RSRC2:TGID_Z_EN: 0
; COMPUTE_PGM_RSRC2:TIDIG_COMP_CNT: 0
	.section	.text._Z11rank_kernelILj234ELj9ELj4ELb0EL18RadixRankAlgorithm1E6__halfEvPKT4_Pijj,"axG",@progbits,_Z11rank_kernelILj234ELj9ELj4ELb0EL18RadixRankAlgorithm1E6__halfEvPKT4_Pijj,comdat
	.protected	_Z11rank_kernelILj234ELj9ELj4ELb0EL18RadixRankAlgorithm1E6__halfEvPKT4_Pijj ; -- Begin function _Z11rank_kernelILj234ELj9ELj4ELb0EL18RadixRankAlgorithm1E6__halfEvPKT4_Pijj
	.globl	_Z11rank_kernelILj234ELj9ELj4ELb0EL18RadixRankAlgorithm1E6__halfEvPKT4_Pijj
	.p2align	8
	.type	_Z11rank_kernelILj234ELj9ELj4ELb0EL18RadixRankAlgorithm1E6__halfEvPKT4_Pijj,@function
_Z11rank_kernelILj234ELj9ELj4ELb0EL18RadixRankAlgorithm1E6__halfEvPKT4_Pijj: ; @_Z11rank_kernelILj234ELj9ELj4ELb0EL18RadixRankAlgorithm1E6__halfEvPKT4_Pijj
; %bb.0:
	s_load_dwordx4 s[0:3], s[4:5], 0x0
	s_mulk_i32 s6, 0x83a
	s_mov_b32 s7, 0
	s_lshl_b64 s[8:9], s[6:7], 1
	v_mul_u32_u24_e32 v9, 9, v0
	s_waitcnt lgkmcnt(0)
	s_add_u32 s0, s0, s8
	s_addc_u32 s1, s1, s9
	v_lshlrev_b32_e32 v6, 1, v9
	global_load_dwordx4 v[1:4], v6, s[0:1]
	global_load_ushort v5, v6, s[0:1] offset:16
	v_lshlrev_b32_e32 v6, 2, v0
	s_movk_i32 s0, 0x3a8
	v_mov_b32_e32 v7, 0
	v_add_u32_e32 v8, 0x700, v6
	v_cmp_gt_u32_e32 vcc, s0, v0
	ds_write2_b32 v6, v7, v7 offset1:234
	ds_write2_b32 v8, v7, v7 offset0:20 offset1:254
	s_and_saveexec_b64 s[0:1], vcc
	s_cbranch_execz .LBB32_5
; %bb.1:
	s_movk_i32 s8, 0x2be
	v_cmp_gt_u32_e32 vcc, s8, v0
	ds_write_b32 v6, v7 offset:3744
	s_and_b64 exec, exec, vcc
	s_cbranch_execz .LBB32_5
; %bb.2:
	s_movk_i32 s8, 0x1d4
	v_mov_b32_e32 v7, 0
	v_cmp_gt_u32_e32 vcc, s8, v0
	ds_write_b32 v6, v7 offset:4680
	s_and_b64 exec, exec, vcc
	s_cbranch_execz .LBB32_5
; %bb.3:
	s_movk_i32 s8, 0xea
	v_cmp_gt_u32_e32 vcc, s8, v0
	ds_write_b32 v6, v7 offset:5616
	s_and_b64 exec, exec, vcc
; %bb.4:
	v_mov_b32_e32 v7, 0
	ds_write_b32 v6, v7 offset:6552
.LBB32_5:
	s_or_b64 exec, exec, s[0:1]
	s_load_dwordx2 s[4:5], s[4:5], 0x10
	v_mov_b32_e32 v6, 0xffff8000
	s_waitcnt vmcnt(1)
	v_cmp_lt_i16_e32 vcc, -1, v1
	v_cndmask_b32_e32 v7, -1, v6, vcc
	v_xor_b32_e32 v7, v7, v1
	s_waitcnt lgkmcnt(0)
	s_and_b32 s5, s5, 31
	s_cmp_eq_u32 s5, 0
	s_cselect_b64 s[0:1], -1, 0
	s_and_b32 s4, s4, 31
	s_movk_i32 s8, 0x7fff
	s_add_i32 s4, s4, s5
	v_cmp_ne_u16_e32 vcc, s8, v7
	s_sub_i32 s4, 32, s4
	v_cndmask_b32_e32 v7, v6, v7, vcc
	s_sub_i32 s5, 32, s5
	v_lshlrev_b32_sdwa v7, s4, v7 dst_sel:DWORD dst_unused:UNUSED_PAD src0_sel:DWORD src1_sel:WORD_0
	v_bfe_u32 v7, v7, s5, 16
	v_cndmask_b32_e64 v7, v7, 0, s[0:1]
	v_and_b32_e32 v8, 7, v7
	s_movk_i32 s9, 0xea
	v_lshrrev_b32_e32 v7, 2, v7
	v_mad_u32_u24 v8, v8, s9, v0
	v_and_b32_e32 v7, 0x3ffe, v7
	v_lshl_add_u32 v11, v8, 2, v7
	v_mov_b32_e32 v7, -1
	v_cmp_gt_i16_sdwa vcc, v1, v7 src0_sel:WORD_1 src1_sel:DWORD
	v_cndmask_b32_e32 v8, -1, v6, vcc
	ds_read_u16 v10, v11
	v_xor_b32_sdwa v1, v8, v1 dst_sel:DWORD dst_unused:UNUSED_PAD src0_sel:DWORD src1_sel:WORD_1
	v_cmp_ne_u16_e32 vcc, s8, v1
	v_cndmask_b32_e32 v1, v6, v1, vcc
	v_lshlrev_b32_sdwa v1, s4, v1 dst_sel:DWORD dst_unused:UNUSED_PAD src0_sel:DWORD src1_sel:WORD_0
	v_bfe_u32 v1, v1, s5, 16
	s_waitcnt lgkmcnt(0)
	v_add_u16_e32 v8, 1, v10
	v_cndmask_b32_e64 v1, v1, 0, s[0:1]
	ds_write_b16 v11, v8
	v_and_b32_e32 v8, 7, v1
	v_lshrrev_b32_e32 v1, 2, v1
	v_mad_u32_u24 v8, v8, s9, v0
	v_and_b32_e32 v1, 0x3ffe, v1
	v_cmp_lt_i16_e32 vcc, -1, v2
	v_lshl_add_u32 v13, v8, 2, v1
	v_cndmask_b32_e32 v1, -1, v6, vcc
	ds_read_u16 v12, v13
	v_xor_b32_e32 v1, v1, v2
	v_cmp_ne_u16_e32 vcc, s8, v1
	v_cndmask_b32_e32 v1, v6, v1, vcc
	v_lshlrev_b32_sdwa v1, s4, v1 dst_sel:DWORD dst_unused:UNUSED_PAD src0_sel:DWORD src1_sel:WORD_0
	v_bfe_u32 v1, v1, s5, 16
	s_waitcnt lgkmcnt(0)
	v_add_u16_e32 v8, 1, v12
	v_cndmask_b32_e64 v1, v1, 0, s[0:1]
	ds_write_b16 v13, v8
	v_and_b32_e32 v8, 7, v1
	v_lshrrev_b32_e32 v1, 2, v1
	v_mad_u32_u24 v8, v8, s9, v0
	v_and_b32_e32 v1, 0x3ffe, v1
	v_cmp_gt_i16_sdwa vcc, v2, v7 src0_sel:WORD_1 src1_sel:DWORD
	v_lshl_add_u32 v15, v8, 2, v1
	v_cndmask_b32_e32 v1, -1, v6, vcc
	ds_read_u16 v14, v15
	v_xor_b32_sdwa v1, v1, v2 dst_sel:DWORD dst_unused:UNUSED_PAD src0_sel:DWORD src1_sel:WORD_1
	v_cmp_ne_u16_e32 vcc, s8, v1
	v_cndmask_b32_e32 v1, v6, v1, vcc
	v_lshlrev_b32_sdwa v1, s4, v1 dst_sel:DWORD dst_unused:UNUSED_PAD src0_sel:DWORD src1_sel:WORD_0
	v_bfe_u32 v1, v1, s5, 16
	s_waitcnt lgkmcnt(0)
	v_add_u16_e32 v2, 1, v14
	v_cndmask_b32_e64 v1, v1, 0, s[0:1]
	ds_write_b16 v15, v2
	v_and_b32_e32 v2, 7, v1
	v_lshrrev_b32_e32 v1, 2, v1
	v_mad_u32_u24 v2, v2, s9, v0
	v_and_b32_e32 v1, 0x3ffe, v1
	v_cmp_lt_i16_e32 vcc, -1, v3
	v_lshl_add_u32 v17, v2, 2, v1
	v_cndmask_b32_e32 v1, -1, v6, vcc
	ds_read_u16 v16, v17
	v_xor_b32_e32 v1, v1, v3
	v_cmp_ne_u16_e32 vcc, s8, v1
	v_cndmask_b32_e32 v1, v6, v1, vcc
	v_lshlrev_b32_sdwa v1, s4, v1 dst_sel:DWORD dst_unused:UNUSED_PAD src0_sel:DWORD src1_sel:WORD_0
	v_bfe_u32 v1, v1, s5, 16
	s_waitcnt lgkmcnt(0)
	v_add_u16_e32 v2, 1, v16
	v_cndmask_b32_e64 v1, v1, 0, s[0:1]
	ds_write_b16 v17, v2
	v_and_b32_e32 v2, 7, v1
	v_lshrrev_b32_e32 v1, 2, v1
	v_mad_u32_u24 v2, v2, s9, v0
	v_and_b32_e32 v1, 0x3ffe, v1
	v_cmp_gt_i16_sdwa vcc, v3, v7 src0_sel:WORD_1 src1_sel:DWORD
	v_lshl_add_u32 v19, v2, 2, v1
	;; [unrolled: 34-line block ×3, first 2 shown]
	v_cndmask_b32_e32 v1, -1, v6, vcc
	ds_read_u16 v22, v23
	v_xor_b32_sdwa v1, v1, v4 dst_sel:DWORD dst_unused:UNUSED_PAD src0_sel:DWORD src1_sel:WORD_1
	v_cmp_ne_u16_e32 vcc, s8, v1
	v_cndmask_b32_e32 v1, v6, v1, vcc
	v_lshlrev_b32_sdwa v1, s4, v1 dst_sel:DWORD dst_unused:UNUSED_PAD src0_sel:DWORD src1_sel:WORD_0
	v_bfe_u32 v1, v1, s5, 16
	s_waitcnt lgkmcnt(0)
	v_add_u16_e32 v2, 1, v22
	v_cndmask_b32_e64 v1, v1, 0, s[0:1]
	ds_write_b16 v23, v2
	v_and_b32_e32 v2, 7, v1
	v_lshrrev_b32_e32 v1, 2, v1
	v_mad_u32_u24 v2, v2, s9, v0
	v_and_b32_e32 v1, 0x3ffe, v1
	s_waitcnt vmcnt(0)
	v_cmp_lt_i16_e32 vcc, -1, v5
	v_lshl_add_u32 v25, v2, 2, v1
	v_cndmask_b32_e32 v1, -1, v6, vcc
	ds_read_u16 v24, v25
	v_xor_b32_e32 v1, v1, v5
	v_cmp_ne_u16_e32 vcc, s8, v1
	v_cndmask_b32_e32 v1, v6, v1, vcc
	v_lshlrev_b32_sdwa v1, s4, v1 dst_sel:DWORD dst_unused:UNUSED_PAD src0_sel:DWORD src1_sel:WORD_0
	v_bfe_u32 v1, v1, s5, 16
	s_waitcnt lgkmcnt(0)
	v_add_u16_e32 v2, 1, v24
	v_cndmask_b32_e64 v1, v1, 0, s[0:1]
	ds_write_b16 v25, v2
	v_and_b32_e32 v2, 7, v1
	v_lshrrev_b32_e32 v1, 2, v1
	v_mad_u32_u24 v2, v2, s9, v0
	v_and_b32_e32 v1, 0x3ffe, v1
	v_lshl_add_u32 v27, v2, 2, v1
	ds_read_u16 v26, v27
	v_lshlrev_b32_e32 v28, 5, v0
	s_waitcnt lgkmcnt(0)
	v_add_u16_e32 v1, 1, v26
	ds_write_b16 v27, v1
	s_waitcnt lgkmcnt(0)
	s_barrier
	ds_read_b128 v[5:8], v28
	ds_read_b128 v[1:4], v28 offset:16
	s_waitcnt lgkmcnt(1)
	v_add_u32_e32 v29, v6, v5
	v_add3_u32 v29, v29, v7, v8
	s_waitcnt lgkmcnt(0)
	v_add3_u32 v29, v29, v1, v2
	v_add3_u32 v29, v29, v3, v4
	v_mbcnt_lo_u32_b32 v4, -1, 0
	v_mbcnt_hi_u32_b32 v4, -1, v4
	v_and_b32_e32 v30, 15, v4
	v_mov_b32_dpp v31, v29 row_shr:1 row_mask:0xf bank_mask:0xf
	v_cmp_ne_u32_e32 vcc, 0, v30
	v_cndmask_b32_e32 v31, 0, v31, vcc
	v_add_u32_e32 v29, v31, v29
	v_cmp_lt_u32_e32 vcc, 1, v30
	s_nop 0
	v_mov_b32_dpp v31, v29 row_shr:2 row_mask:0xf bank_mask:0xf
	v_cndmask_b32_e32 v31, 0, v31, vcc
	v_add_u32_e32 v29, v29, v31
	v_cmp_lt_u32_e32 vcc, 3, v30
	s_nop 0
	v_mov_b32_dpp v31, v29 row_shr:4 row_mask:0xf bank_mask:0xf
	;; [unrolled: 5-line block ×3, first 2 shown]
	v_cndmask_b32_e32 v30, 0, v31, vcc
	v_add_u32_e32 v29, v29, v30
	v_bfe_i32 v31, v4, 4, 1
	v_cmp_lt_u32_e32 vcc, 31, v4
	v_mov_b32_dpp v30, v29 row_bcast:15 row_mask:0xf bank_mask:0xf
	v_and_b32_e32 v30, v31, v30
	v_add_u32_e32 v29, v29, v30
	v_and_b32_e32 v31, 0xc0, v0
	v_min_u32_e32 v31, 0xaa, v31
	v_mov_b32_dpp v30, v29 row_bcast:31 row_mask:0xf bank_mask:0xf
	v_cndmask_b32_e32 v30, 0, v30, vcc
	v_add_u32_e32 v29, v29, v30
	v_lshrrev_b32_e32 v30, 6, v0
	v_add_u32_e32 v31, 63, v31
	v_cmp_eq_u32_e32 vcc, v0, v31
	v_lshlrev_b32_e32 v30, 2, v30
	s_and_saveexec_b64 s[0:1], vcc
; %bb.6:
	ds_write_b32 v30, v29 offset:7488
; %bb.7:
	s_or_b64 exec, exec, s[0:1]
	v_cmp_gt_u32_e32 vcc, 4, v0
	s_waitcnt lgkmcnt(0)
	s_barrier
	s_and_saveexec_b64 s[0:1], vcc
	s_cbranch_execz .LBB32_9
; %bb.8:
	s_movk_i32 s4, 0xffe4
	v_mad_i32_i24 v31, v0, s4, v28
	ds_read_b32 v32, v31 offset:7488
	v_and_b32_e32 v33, 3, v4
	v_cmp_ne_u32_e32 vcc, 0, v33
	s_waitcnt lgkmcnt(0)
	v_mov_b32_dpp v34, v32 row_shr:1 row_mask:0xf bank_mask:0xf
	v_cndmask_b32_e32 v34, 0, v34, vcc
	v_add_u32_e32 v32, v34, v32
	v_cmp_lt_u32_e32 vcc, 1, v33
	s_nop 0
	v_mov_b32_dpp v34, v32 row_shr:2 row_mask:0xf bank_mask:0xf
	v_cndmask_b32_e32 v33, 0, v34, vcc
	v_add_u32_e32 v32, v32, v33
	ds_write_b32 v31, v32 offset:7488
.LBB32_9:
	s_or_b64 exec, exec, s[0:1]
	v_cmp_lt_u32_e32 vcc, 63, v0
	v_mov_b32_e32 v0, 0
	v_mov_b32_e32 v31, 0
	s_waitcnt lgkmcnt(0)
	s_barrier
	s_and_saveexec_b64 s[0:1], vcc
; %bb.10:
	ds_read_b32 v31, v30 offset:7484
; %bb.11:
	s_or_b64 exec, exec, s[0:1]
	v_subrev_co_u32_e32 v30, vcc, 1, v4
	v_and_b32_e32 v32, 64, v4
	v_cmp_lt_i32_e64 s[0:1], v30, v32
	v_cndmask_b32_e64 v4, v30, v4, s[0:1]
	s_waitcnt lgkmcnt(0)
	v_add_u32_e32 v29, v31, v29
	v_lshlrev_b32_e32 v4, 2, v4
	ds_bpermute_b32 v4, v4, v29
	ds_read_b32 v0, v0 offset:7500
	s_lshl_b64 s[0:1], s[6:7], 2
	s_add_u32 s0, s2, s0
	s_addc_u32 s1, s3, s1
	s_waitcnt lgkmcnt(1)
	v_cndmask_b32_e32 v4, v4, v31, vcc
	s_waitcnt lgkmcnt(0)
	v_lshl_add_u32 v4, v0, 16, v4
	v_add_u32_e32 v5, v4, v5
	v_add_u32_e32 v6, v5, v6
	;; [unrolled: 1-line block ×7, first 2 shown]
	ds_write_b128 v28, v[4:7]
	ds_write_b128 v28, v[0:3] offset:16
	s_waitcnt lgkmcnt(0)
	s_barrier
	ds_read_u16 v0, v11
	ds_read_u16 v1, v13
	ds_read_u16 v2, v15
	ds_read_u16 v3, v17
	ds_read_u16 v4, v19
	ds_read_u16 v5, v21
	ds_read_u16 v6, v23
	ds_read_u16 v7, v25
	ds_read_u16 v8, v27
	s_waitcnt lgkmcnt(8)
	v_add_u32_sdwa v0, v0, v10 dst_sel:DWORD dst_unused:UNUSED_PAD src0_sel:DWORD src1_sel:WORD_0
	s_waitcnt lgkmcnt(7)
	v_add_u32_sdwa v1, v1, v12 dst_sel:DWORD dst_unused:UNUSED_PAD src0_sel:DWORD src1_sel:WORD_0
	;; [unrolled: 2-line block ×4, first 2 shown]
	v_lshlrev_b32_e32 v9, 2, v9
	s_waitcnt lgkmcnt(4)
	v_add_u32_sdwa v4, v4, v18 dst_sel:DWORD dst_unused:UNUSED_PAD src0_sel:DWORD src1_sel:WORD_0
	s_waitcnt lgkmcnt(3)
	v_add_u32_sdwa v5, v5, v20 dst_sel:DWORD dst_unused:UNUSED_PAD src0_sel:DWORD src1_sel:WORD_0
	;; [unrolled: 2-line block ×5, first 2 shown]
	global_store_dwordx4 v9, v[0:3], s[0:1]
	global_store_dwordx4 v9, v[4:7], s[0:1] offset:16
	global_store_dword v9, v8, s[0:1] offset:32
	s_endpgm
	.section	.rodata,"a",@progbits
	.p2align	6, 0x0
	.amdhsa_kernel _Z11rank_kernelILj234ELj9ELj4ELb0EL18RadixRankAlgorithm1E6__halfEvPKT4_Pijj
		.amdhsa_group_segment_fixed_size 8432
		.amdhsa_private_segment_fixed_size 0
		.amdhsa_kernarg_size 24
		.amdhsa_user_sgpr_count 6
		.amdhsa_user_sgpr_private_segment_buffer 1
		.amdhsa_user_sgpr_dispatch_ptr 0
		.amdhsa_user_sgpr_queue_ptr 0
		.amdhsa_user_sgpr_kernarg_segment_ptr 1
		.amdhsa_user_sgpr_dispatch_id 0
		.amdhsa_user_sgpr_flat_scratch_init 0
		.amdhsa_user_sgpr_private_segment_size 0
		.amdhsa_uses_dynamic_stack 0
		.amdhsa_system_sgpr_private_segment_wavefront_offset 0
		.amdhsa_system_sgpr_workgroup_id_x 1
		.amdhsa_system_sgpr_workgroup_id_y 0
		.amdhsa_system_sgpr_workgroup_id_z 0
		.amdhsa_system_sgpr_workgroup_info 0
		.amdhsa_system_vgpr_workitem_id 0
		.amdhsa_next_free_vgpr 35
		.amdhsa_next_free_sgpr 77
		.amdhsa_reserve_vcc 1
		.amdhsa_reserve_flat_scratch 0
		.amdhsa_float_round_mode_32 0
		.amdhsa_float_round_mode_16_64 0
		.amdhsa_float_denorm_mode_32 3
		.amdhsa_float_denorm_mode_16_64 3
		.amdhsa_dx10_clamp 1
		.amdhsa_ieee_mode 1
		.amdhsa_fp16_overflow 0
		.amdhsa_exception_fp_ieee_invalid_op 0
		.amdhsa_exception_fp_denorm_src 0
		.amdhsa_exception_fp_ieee_div_zero 0
		.amdhsa_exception_fp_ieee_overflow 0
		.amdhsa_exception_fp_ieee_underflow 0
		.amdhsa_exception_fp_ieee_inexact 0
		.amdhsa_exception_int_div_zero 0
	.end_amdhsa_kernel
	.section	.text._Z11rank_kernelILj234ELj9ELj4ELb0EL18RadixRankAlgorithm1E6__halfEvPKT4_Pijj,"axG",@progbits,_Z11rank_kernelILj234ELj9ELj4ELb0EL18RadixRankAlgorithm1E6__halfEvPKT4_Pijj,comdat
.Lfunc_end32:
	.size	_Z11rank_kernelILj234ELj9ELj4ELb0EL18RadixRankAlgorithm1E6__halfEvPKT4_Pijj, .Lfunc_end32-_Z11rank_kernelILj234ELj9ELj4ELb0EL18RadixRankAlgorithm1E6__halfEvPKT4_Pijj
                                        ; -- End function
	.set _Z11rank_kernelILj234ELj9ELj4ELb0EL18RadixRankAlgorithm1E6__halfEvPKT4_Pijj.num_vgpr, 35
	.set _Z11rank_kernelILj234ELj9ELj4ELb0EL18RadixRankAlgorithm1E6__halfEvPKT4_Pijj.num_agpr, 0
	.set _Z11rank_kernelILj234ELj9ELj4ELb0EL18RadixRankAlgorithm1E6__halfEvPKT4_Pijj.numbered_sgpr, 10
	.set _Z11rank_kernelILj234ELj9ELj4ELb0EL18RadixRankAlgorithm1E6__halfEvPKT4_Pijj.num_named_barrier, 0
	.set _Z11rank_kernelILj234ELj9ELj4ELb0EL18RadixRankAlgorithm1E6__halfEvPKT4_Pijj.private_seg_size, 0
	.set _Z11rank_kernelILj234ELj9ELj4ELb0EL18RadixRankAlgorithm1E6__halfEvPKT4_Pijj.uses_vcc, 1
	.set _Z11rank_kernelILj234ELj9ELj4ELb0EL18RadixRankAlgorithm1E6__halfEvPKT4_Pijj.uses_flat_scratch, 0
	.set _Z11rank_kernelILj234ELj9ELj4ELb0EL18RadixRankAlgorithm1E6__halfEvPKT4_Pijj.has_dyn_sized_stack, 0
	.set _Z11rank_kernelILj234ELj9ELj4ELb0EL18RadixRankAlgorithm1E6__halfEvPKT4_Pijj.has_recursion, 0
	.set _Z11rank_kernelILj234ELj9ELj4ELb0EL18RadixRankAlgorithm1E6__halfEvPKT4_Pijj.has_indirect_call, 0
	.section	.AMDGPU.csdata,"",@progbits
; Kernel info:
; codeLenInByte = 1948
; TotalNumSgprs: 14
; NumVgprs: 35
; ScratchSize: 0
; MemoryBound: 0
; FloatMode: 240
; IeeeMode: 1
; LDSByteSize: 8432 bytes/workgroup (compile time only)
; SGPRBlocks: 10
; VGPRBlocks: 8
; NumSGPRsForWavesPerEU: 81
; NumVGPRsForWavesPerEU: 35
; Occupancy: 7
; WaveLimiterHint : 0
; COMPUTE_PGM_RSRC2:SCRATCH_EN: 0
; COMPUTE_PGM_RSRC2:USER_SGPR: 6
; COMPUTE_PGM_RSRC2:TRAP_HANDLER: 0
; COMPUTE_PGM_RSRC2:TGID_X_EN: 1
; COMPUTE_PGM_RSRC2:TGID_Y_EN: 0
; COMPUTE_PGM_RSRC2:TGID_Z_EN: 0
; COMPUTE_PGM_RSRC2:TIDIG_COMP_CNT: 0
	.section	.text._Z11rank_kernelILj100ELj3ELj4ELb0EL18RadixRankAlgorithm1EtEvPKT4_Pijj,"axG",@progbits,_Z11rank_kernelILj100ELj3ELj4ELb0EL18RadixRankAlgorithm1EtEvPKT4_Pijj,comdat
	.protected	_Z11rank_kernelILj100ELj3ELj4ELb0EL18RadixRankAlgorithm1EtEvPKT4_Pijj ; -- Begin function _Z11rank_kernelILj100ELj3ELj4ELb0EL18RadixRankAlgorithm1EtEvPKT4_Pijj
	.globl	_Z11rank_kernelILj100ELj3ELj4ELb0EL18RadixRankAlgorithm1EtEvPKT4_Pijj
	.p2align	8
	.type	_Z11rank_kernelILj100ELj3ELj4ELb0EL18RadixRankAlgorithm1EtEvPKT4_Pijj,@function
_Z11rank_kernelILj100ELj3ELj4ELb0EL18RadixRankAlgorithm1EtEvPKT4_Pijj: ; @_Z11rank_kernelILj100ELj3ELj4ELb0EL18RadixRankAlgorithm1EtEvPKT4_Pijj
; %bb.0:
	s_load_dwordx4 s[0:3], s[4:5], 0x0
	s_mulk_i32 s6, 0x12c
	s_mov_b32 s7, 0
	s_lshl_b64 s[8:9], s[6:7], 1
	v_mul_u32_u24_e32 v9, 3, v0
	s_waitcnt lgkmcnt(0)
	s_add_u32 s0, s0, s8
	s_addc_u32 s1, s1, s9
	v_lshlrev_b32_e32 v3, 1, v9
	global_load_dword v2, v3, s[0:1]
	global_load_ushort v1, v3, s[0:1] offset:4
	s_movk_i32 s0, 0x320
	v_mov_b32_e32 v4, 0
	v_cmp_gt_u32_e32 vcc, s0, v0
	s_and_saveexec_b64 s[0:1], vcc
	s_cbranch_execz .LBB33_9
; %bb.1:
	s_movk_i32 s8, 0x2bc
	v_lshlrev_b32_e32 v3, 2, v0
	v_cmp_gt_u32_e32 vcc, s8, v0
	ds_write_b32 v3, v4
	s_and_b64 exec, exec, vcc
	s_cbranch_execz .LBB33_9
; %bb.2:
	s_movk_i32 s8, 0x258
	v_mov_b32_e32 v4, 0
	v_cmp_gt_u32_e32 vcc, s8, v0
	ds_write_b32 v3, v4 offset:400
	s_and_b64 exec, exec, vcc
	s_cbranch_execz .LBB33_9
; %bb.3:
	s_movk_i32 s8, 0x1f4
	v_cmp_gt_u32_e32 vcc, s8, v0
	ds_write_b32 v3, v4 offset:800
	s_and_b64 exec, exec, vcc
	s_cbranch_execz .LBB33_9
; %bb.4:
	s_movk_i32 s8, 0x190
	v_mov_b32_e32 v4, 0
	v_cmp_gt_u32_e32 vcc, s8, v0
	ds_write_b32 v3, v4 offset:1200
	s_and_b64 exec, exec, vcc
	s_cbranch_execz .LBB33_9
; %bb.5:
	s_movk_i32 s8, 0x12c
	v_cmp_gt_u32_e32 vcc, s8, v0
	ds_write_b32 v3, v4 offset:1600
	;; [unrolled: 13-line block ×3, first 2 shown]
	s_and_b64 exec, exec, vcc
; %bb.8:
	v_mov_b32_e32 v4, 0
	ds_write_b32 v3, v4 offset:2800
.LBB33_9:
	s_or_b64 exec, exec, s[0:1]
	s_load_dwordx2 s[0:1], s[4:5], 0x10
	s_movk_i32 s8, 0x64
	v_lshlrev_b32_e32 v16, 5, v0
	s_waitcnt lgkmcnt(0)
	s_and_b32 s1, s1, 31
	s_cmp_eq_u32 s1, 0
	s_cselect_b64 s[4:5], -1, 0
	s_and_b32 s0, s0, 31
	s_add_i32 s0, s0, s1
	s_sub_i32 s0, 32, s0
	s_sub_i32 s9, 32, s1
	s_waitcnt vmcnt(1)
	v_lshlrev_b32_sdwa v3, s0, v2 dst_sel:DWORD dst_unused:UNUSED_PAD src0_sel:DWORD src1_sel:WORD_0
	v_bfe_u32 v3, v3, s9, 16
	v_cndmask_b32_e64 v3, v3, 0, s[4:5]
	v_and_b32_e32 v4, 7, v3
	v_lshrrev_b32_e32 v3, 2, v3
	v_mad_u32_u24 v4, v4, s8, v0
	v_and_b32_e32 v3, 0x3ffe, v3
	v_lshl_add_u32 v11, v4, 2, v3
	ds_read_u16 v10, v11
	v_lshlrev_b32_sdwa v2, s0, v2 dst_sel:DWORD dst_unused:UNUSED_PAD src0_sel:DWORD src1_sel:WORD_1
	v_bfe_u32 v2, v2, s9, 16
	v_cndmask_b32_e64 v2, v2, 0, s[4:5]
	s_waitcnt vmcnt(0)
	v_lshlrev_b32_sdwa v1, s0, v1 dst_sel:DWORD dst_unused:UNUSED_PAD src0_sel:DWORD src1_sel:WORD_0
	s_waitcnt lgkmcnt(0)
	v_add_u16_e32 v3, 1, v10
	ds_write_b16 v11, v3
	v_and_b32_e32 v3, 7, v2
	v_lshrrev_b32_e32 v2, 2, v2
	v_mad_u32_u24 v3, v3, s8, v0
	v_and_b32_e32 v2, 0x3ffe, v2
	v_lshl_add_u32 v13, v3, 2, v2
	ds_read_u16 v12, v13
	v_bfe_u32 v1, v1, s9, 16
	v_cndmask_b32_e64 v1, v1, 0, s[4:5]
	s_waitcnt lgkmcnt(0)
	v_add_u16_e32 v2, 1, v12
	ds_write_b16 v13, v2
	v_and_b32_e32 v2, 7, v1
	v_lshrrev_b32_e32 v1, 2, v1
	v_mad_u32_u24 v2, v2, s8, v0
	v_and_b32_e32 v1, 0x3ffe, v1
	v_lshl_add_u32 v15, v2, 2, v1
	ds_read_u16 v14, v15
	s_waitcnt lgkmcnt(0)
	v_add_u16_e32 v1, 1, v14
	ds_write_b16 v15, v1
	s_waitcnt lgkmcnt(0)
	s_barrier
	ds_read_b128 v[5:8], v16
	ds_read_b128 v[1:4], v16 offset:16
	s_waitcnt lgkmcnt(1)
	v_add_u32_e32 v17, v6, v5
	v_add3_u32 v17, v17, v7, v8
	s_waitcnt lgkmcnt(0)
	v_add3_u32 v17, v17, v1, v2
	v_add3_u32 v17, v17, v3, v4
	v_mbcnt_lo_u32_b32 v4, -1, 0
	v_mbcnt_hi_u32_b32 v4, -1, v4
	v_and_b32_e32 v18, 15, v4
	v_mov_b32_dpp v19, v17 row_shr:1 row_mask:0xf bank_mask:0xf
	v_cmp_ne_u32_e32 vcc, 0, v18
	v_cndmask_b32_e32 v19, 0, v19, vcc
	v_add_u32_e32 v17, v19, v17
	v_cmp_lt_u32_e32 vcc, 1, v18
	s_nop 0
	v_mov_b32_dpp v19, v17 row_shr:2 row_mask:0xf bank_mask:0xf
	v_cndmask_b32_e32 v19, 0, v19, vcc
	v_add_u32_e32 v17, v17, v19
	v_cmp_lt_u32_e32 vcc, 3, v18
	s_nop 0
	v_mov_b32_dpp v19, v17 row_shr:4 row_mask:0xf bank_mask:0xf
	;; [unrolled: 5-line block ×3, first 2 shown]
	v_cndmask_b32_e32 v18, 0, v19, vcc
	v_add_u32_e32 v17, v17, v18
	v_bfe_i32 v19, v4, 4, 1
	v_cmp_lt_u32_e32 vcc, 31, v4
	v_mov_b32_dpp v18, v17 row_bcast:15 row_mask:0xf bank_mask:0xf
	v_and_b32_e32 v18, v19, v18
	v_add_u32_e32 v17, v17, v18
	v_and_b32_e32 v19, 64, v0
	v_min_u32_e32 v19, 36, v19
	v_mov_b32_dpp v18, v17 row_bcast:31 row_mask:0xf bank_mask:0xf
	v_cndmask_b32_e32 v18, 0, v18, vcc
	v_add_u32_e32 v17, v17, v18
	v_lshrrev_b32_e32 v18, 6, v0
	v_add_u32_e32 v19, 63, v19
	v_cmp_eq_u32_e32 vcc, v0, v19
	v_lshlrev_b32_e32 v18, 2, v18
	s_and_saveexec_b64 s[0:1], vcc
; %bb.10:
	ds_write_b32 v18, v17 offset:3200
; %bb.11:
	s_or_b64 exec, exec, s[0:1]
	v_cmp_gt_u32_e32 vcc, 2, v0
	s_waitcnt lgkmcnt(0)
	s_barrier
	s_and_saveexec_b64 s[0:1], vcc
	s_cbranch_execz .LBB33_13
; %bb.12:
	s_movk_i32 s4, 0xffe4
	v_mad_i32_i24 v19, v0, s4, v16
	ds_read_b32 v20, v19 offset:3200
	v_bfe_i32 v21, v4, 0, 1
	s_waitcnt lgkmcnt(0)
	v_mov_b32_dpp v22, v20 row_shr:1 row_mask:0xf bank_mask:0xf
	v_and_b32_e32 v21, v21, v22
	v_add_u32_e32 v20, v21, v20
	ds_write_b32 v19, v20 offset:3200
.LBB33_13:
	s_or_b64 exec, exec, s[0:1]
	v_cmp_lt_u32_e32 vcc, 63, v0
	v_mov_b32_e32 v0, 0
	v_mov_b32_e32 v19, 0
	s_waitcnt lgkmcnt(0)
	s_barrier
	s_and_saveexec_b64 s[0:1], vcc
; %bb.14:
	ds_read_b32 v19, v18 offset:3196
; %bb.15:
	s_or_b64 exec, exec, s[0:1]
	v_subrev_co_u32_e32 v18, vcc, 1, v4
	v_and_b32_e32 v20, 64, v4
	v_cmp_lt_i32_e64 s[0:1], v18, v20
	v_cndmask_b32_e64 v4, v18, v4, s[0:1]
	s_waitcnt lgkmcnt(0)
	v_add_u32_e32 v17, v19, v17
	v_lshlrev_b32_e32 v4, 2, v4
	ds_bpermute_b32 v4, v4, v17
	ds_read_b32 v0, v0 offset:3204
	s_lshl_b64 s[0:1], s[6:7], 2
	s_add_u32 s0, s2, s0
	s_addc_u32 s1, s3, s1
	s_waitcnt lgkmcnt(1)
	v_cndmask_b32_e32 v4, v4, v19, vcc
	s_waitcnt lgkmcnt(0)
	v_lshl_add_u32 v4, v0, 16, v4
	v_add_u32_e32 v5, v4, v5
	v_add_u32_e32 v6, v5, v6
	;; [unrolled: 1-line block ×7, first 2 shown]
	ds_write_b128 v16, v[4:7]
	ds_write_b128 v16, v[0:3] offset:16
	s_waitcnt lgkmcnt(0)
	s_barrier
	ds_read_u16 v0, v11
	ds_read_u16 v1, v13
	;; [unrolled: 1-line block ×3, first 2 shown]
	v_lshlrev_b32_e32 v3, 2, v9
	s_waitcnt lgkmcnt(2)
	v_add_u32_sdwa v0, v0, v10 dst_sel:DWORD dst_unused:UNUSED_PAD src0_sel:DWORD src1_sel:WORD_0
	s_waitcnt lgkmcnt(1)
	v_add_u32_sdwa v1, v1, v12 dst_sel:DWORD dst_unused:UNUSED_PAD src0_sel:DWORD src1_sel:WORD_0
	;; [unrolled: 2-line block ×3, first 2 shown]
	global_store_dwordx3 v3, v[0:2], s[0:1]
	s_endpgm
	.section	.rodata,"a",@progbits
	.p2align	6, 0x0
	.amdhsa_kernel _Z11rank_kernelILj100ELj3ELj4ELb0EL18RadixRankAlgorithm1EtEvPKT4_Pijj
		.amdhsa_group_segment_fixed_size 3216
		.amdhsa_private_segment_fixed_size 0
		.amdhsa_kernarg_size 24
		.amdhsa_user_sgpr_count 6
		.amdhsa_user_sgpr_private_segment_buffer 1
		.amdhsa_user_sgpr_dispatch_ptr 0
		.amdhsa_user_sgpr_queue_ptr 0
		.amdhsa_user_sgpr_kernarg_segment_ptr 1
		.amdhsa_user_sgpr_dispatch_id 0
		.amdhsa_user_sgpr_flat_scratch_init 0
		.amdhsa_user_sgpr_private_segment_size 0
		.amdhsa_uses_dynamic_stack 0
		.amdhsa_system_sgpr_private_segment_wavefront_offset 0
		.amdhsa_system_sgpr_workgroup_id_x 1
		.amdhsa_system_sgpr_workgroup_id_y 0
		.amdhsa_system_sgpr_workgroup_id_z 0
		.amdhsa_system_sgpr_workgroup_info 0
		.amdhsa_system_vgpr_workitem_id 0
		.amdhsa_next_free_vgpr 29
		.amdhsa_next_free_sgpr 61
		.amdhsa_reserve_vcc 1
		.amdhsa_reserve_flat_scratch 0
		.amdhsa_float_round_mode_32 0
		.amdhsa_float_round_mode_16_64 0
		.amdhsa_float_denorm_mode_32 3
		.amdhsa_float_denorm_mode_16_64 3
		.amdhsa_dx10_clamp 1
		.amdhsa_ieee_mode 1
		.amdhsa_fp16_overflow 0
		.amdhsa_exception_fp_ieee_invalid_op 0
		.amdhsa_exception_fp_denorm_src 0
		.amdhsa_exception_fp_ieee_div_zero 0
		.amdhsa_exception_fp_ieee_overflow 0
		.amdhsa_exception_fp_ieee_underflow 0
		.amdhsa_exception_fp_ieee_inexact 0
		.amdhsa_exception_int_div_zero 0
	.end_amdhsa_kernel
	.section	.text._Z11rank_kernelILj100ELj3ELj4ELb0EL18RadixRankAlgorithm1EtEvPKT4_Pijj,"axG",@progbits,_Z11rank_kernelILj100ELj3ELj4ELb0EL18RadixRankAlgorithm1EtEvPKT4_Pijj,comdat
.Lfunc_end33:
	.size	_Z11rank_kernelILj100ELj3ELj4ELb0EL18RadixRankAlgorithm1EtEvPKT4_Pijj, .Lfunc_end33-_Z11rank_kernelILj100ELj3ELj4ELb0EL18RadixRankAlgorithm1EtEvPKT4_Pijj
                                        ; -- End function
	.set _Z11rank_kernelILj100ELj3ELj4ELb0EL18RadixRankAlgorithm1EtEvPKT4_Pijj.num_vgpr, 23
	.set _Z11rank_kernelILj100ELj3ELj4ELb0EL18RadixRankAlgorithm1EtEvPKT4_Pijj.num_agpr, 0
	.set _Z11rank_kernelILj100ELj3ELj4ELb0EL18RadixRankAlgorithm1EtEvPKT4_Pijj.numbered_sgpr, 10
	.set _Z11rank_kernelILj100ELj3ELj4ELb0EL18RadixRankAlgorithm1EtEvPKT4_Pijj.num_named_barrier, 0
	.set _Z11rank_kernelILj100ELj3ELj4ELb0EL18RadixRankAlgorithm1EtEvPKT4_Pijj.private_seg_size, 0
	.set _Z11rank_kernelILj100ELj3ELj4ELb0EL18RadixRankAlgorithm1EtEvPKT4_Pijj.uses_vcc, 1
	.set _Z11rank_kernelILj100ELj3ELj4ELb0EL18RadixRankAlgorithm1EtEvPKT4_Pijj.uses_flat_scratch, 0
	.set _Z11rank_kernelILj100ELj3ELj4ELb0EL18RadixRankAlgorithm1EtEvPKT4_Pijj.has_dyn_sized_stack, 0
	.set _Z11rank_kernelILj100ELj3ELj4ELb0EL18RadixRankAlgorithm1EtEvPKT4_Pijj.has_recursion, 0
	.set _Z11rank_kernelILj100ELj3ELj4ELb0EL18RadixRankAlgorithm1EtEvPKT4_Pijj.has_indirect_call, 0
	.section	.AMDGPU.csdata,"",@progbits
; Kernel info:
; codeLenInByte = 1152
; TotalNumSgprs: 14
; NumVgprs: 23
; ScratchSize: 0
; MemoryBound: 0
; FloatMode: 240
; IeeeMode: 1
; LDSByteSize: 3216 bytes/workgroup (compile time only)
; SGPRBlocks: 8
; VGPRBlocks: 7
; NumSGPRsForWavesPerEU: 65
; NumVGPRsForWavesPerEU: 29
; Occupancy: 8
; WaveLimiterHint : 0
; COMPUTE_PGM_RSRC2:SCRATCH_EN: 0
; COMPUTE_PGM_RSRC2:USER_SGPR: 6
; COMPUTE_PGM_RSRC2:TRAP_HANDLER: 0
; COMPUTE_PGM_RSRC2:TGID_X_EN: 1
; COMPUTE_PGM_RSRC2:TGID_Y_EN: 0
; COMPUTE_PGM_RSRC2:TGID_Z_EN: 0
; COMPUTE_PGM_RSRC2:TIDIG_COMP_CNT: 0
	.section	.text._Z11rank_kernelILj464ELj2ELj4ELb1EL18RadixRankAlgorithm1EcEvPKT4_Pijj,"axG",@progbits,_Z11rank_kernelILj464ELj2ELj4ELb1EL18RadixRankAlgorithm1EcEvPKT4_Pijj,comdat
	.protected	_Z11rank_kernelILj464ELj2ELj4ELb1EL18RadixRankAlgorithm1EcEvPKT4_Pijj ; -- Begin function _Z11rank_kernelILj464ELj2ELj4ELb1EL18RadixRankAlgorithm1EcEvPKT4_Pijj
	.globl	_Z11rank_kernelILj464ELj2ELj4ELb1EL18RadixRankAlgorithm1EcEvPKT4_Pijj
	.p2align	8
	.type	_Z11rank_kernelILj464ELj2ELj4ELb1EL18RadixRankAlgorithm1EcEvPKT4_Pijj,@function
_Z11rank_kernelILj464ELj2ELj4ELb1EL18RadixRankAlgorithm1EcEvPKT4_Pijj: ; @_Z11rank_kernelILj464ELj2ELj4ELb1EL18RadixRankAlgorithm1EcEvPKT4_Pijj
; %bb.0:
	s_load_dwordx4 s[0:3], s[4:5], 0x0
	s_mulk_i32 s6, 0x3a0
	v_lshlrev_b32_e32 v9, 1, v0
	s_mov_b32 s7, 0
	v_mov_b32_e32 v3, 0
	s_waitcnt lgkmcnt(0)
	s_add_u32 s0, s0, s6
	s_addc_u32 s1, s1, 0
	global_load_ushort v2, v9, s[0:1]
	s_movk_i32 s0, 0x3a0
	v_lshlrev_b32_e32 v1, 2, v0
	v_cmp_gt_u32_e32 vcc, s0, v0
	ds_write_b32 v1, v3
	ds_write_b32 v1, v3 offset:1856
	ds_write_b32 v1, v3 offset:3712
	;; [unrolled: 1-line block ×5, first 2 shown]
	s_and_saveexec_b64 s[0:1], vcc
	s_cbranch_execz .LBB34_3
; %bb.1:
	s_movk_i32 s8, 0x1d0
	v_cmp_gt_u32_e32 vcc, s8, v0
	ds_write_b32 v1, v3 offset:11136
	s_and_b64 exec, exec, vcc
; %bb.2:
	v_mov_b32_e32 v3, 0
	ds_write_b32 v1, v3 offset:12992
.LBB34_3:
	s_or_b64 exec, exec, s[0:1]
	s_load_dwordx2 s[0:1], s[4:5], 0x10
	s_waitcnt vmcnt(0)
	v_xor_b32_e32 v3, 0x80, v2
	s_movk_i32 s8, 0x1d0
	v_mad_u32_u24 v14, v0, 28, v1
	s_waitcnt lgkmcnt(0)
	s_and_b32 s1, s1, 31
	s_cmp_eq_u32 s1, 0
	s_cselect_b64 s[4:5], -1, 0
	s_and_b32 s0, s0, 31
	s_add_i32 s0, s0, s1
	s_sub_i32 s0, 32, s0
	s_sub_i32 s9, 32, s1
	v_lshlrev_b32_sdwa v3, s0, v3 dst_sel:DWORD dst_unused:UNUSED_PAD src0_sel:DWORD src1_sel:BYTE_0
	v_bfe_u32 v3, v3, s9, 8
	v_xor_b32_e32 v3, 15, v3
	v_cndmask_b32_e64 v3, v3, 15, s[4:5]
	v_and_b32_e32 v4, 7, v3
	v_lshrrev_b32_e32 v3, 2, v3
	v_mad_u32_u24 v4, v4, s8, v0
	v_and_b32_e32 v3, 62, v3
	v_lshl_add_u32 v11, v4, 2, v3
	ds_read_u16 v10, v11
	s_movk_i32 s1, 0x80
	v_xor_b32_sdwa v2, v2, s1 dst_sel:DWORD dst_unused:UNUSED_PAD src0_sel:BYTE_1 src1_sel:DWORD
	v_lshlrev_b32_sdwa v2, s0, v2 dst_sel:DWORD dst_unused:UNUSED_PAD src0_sel:DWORD src1_sel:WORD_0
	v_bfe_u32 v2, v2, s9, 8
	v_xor_b32_e32 v2, 15, v2
	s_waitcnt lgkmcnt(0)
	v_add_u16_e32 v3, 1, v10
	v_cndmask_b32_e64 v2, v2, 15, s[4:5]
	ds_write_b16 v11, v3
	v_and_b32_e32 v3, 7, v2
	v_lshrrev_b32_e32 v2, 2, v2
	v_mad_u32_u24 v3, v3, s8, v0
	v_and_b32_e32 v2, 62, v2
	v_lshl_add_u32 v13, v3, 2, v2
	ds_read_u16 v12, v13
	s_waitcnt lgkmcnt(0)
	v_add_u16_e32 v2, 1, v12
	ds_write_b16 v13, v2
	s_waitcnt lgkmcnt(0)
	s_barrier
	ds_read_b128 v[5:8], v14
	ds_read_b128 v[1:4], v14 offset:16
	s_waitcnt lgkmcnt(1)
	v_add_u32_e32 v15, v6, v5
	v_add3_u32 v15, v15, v7, v8
	s_waitcnt lgkmcnt(0)
	v_add3_u32 v15, v15, v1, v2
	v_add3_u32 v15, v15, v3, v4
	v_mbcnt_lo_u32_b32 v4, -1, 0
	v_mbcnt_hi_u32_b32 v4, -1, v4
	v_and_b32_e32 v16, 15, v4
	v_mov_b32_dpp v17, v15 row_shr:1 row_mask:0xf bank_mask:0xf
	v_cmp_ne_u32_e32 vcc, 0, v16
	v_cndmask_b32_e32 v17, 0, v17, vcc
	v_add_u32_e32 v15, v17, v15
	v_cmp_lt_u32_e32 vcc, 1, v16
	s_nop 0
	v_mov_b32_dpp v17, v15 row_shr:2 row_mask:0xf bank_mask:0xf
	v_cndmask_b32_e32 v17, 0, v17, vcc
	v_add_u32_e32 v15, v15, v17
	v_cmp_lt_u32_e32 vcc, 3, v16
	s_nop 0
	v_mov_b32_dpp v17, v15 row_shr:4 row_mask:0xf bank_mask:0xf
	;; [unrolled: 5-line block ×3, first 2 shown]
	v_cndmask_b32_e32 v16, 0, v17, vcc
	v_add_u32_e32 v15, v15, v16
	v_bfe_i32 v17, v4, 4, 1
	v_cmp_lt_u32_e32 vcc, 31, v4
	v_mov_b32_dpp v16, v15 row_bcast:15 row_mask:0xf bank_mask:0xf
	v_and_b32_e32 v16, v17, v16
	v_add_u32_e32 v15, v15, v16
	v_and_b32_e32 v17, 0x1c0, v0
	v_min_u32_e32 v17, 0x190, v17
	v_mov_b32_dpp v16, v15 row_bcast:31 row_mask:0xf bank_mask:0xf
	v_cndmask_b32_e32 v16, 0, v16, vcc
	v_add_u32_e32 v15, v15, v16
	v_lshrrev_b32_e32 v16, 6, v0
	v_add_u32_e32 v17, 63, v17
	v_cmp_eq_u32_e32 vcc, v0, v17
	v_lshlrev_b32_e32 v16, 2, v16
	s_and_saveexec_b64 s[0:1], vcc
; %bb.4:
	ds_write_b32 v16, v15 offset:14848
; %bb.5:
	s_or_b64 exec, exec, s[0:1]
	v_cmp_gt_u32_e32 vcc, 8, v0
	s_waitcnt lgkmcnt(0)
	s_barrier
	s_and_saveexec_b64 s[0:1], vcc
	s_cbranch_execz .LBB34_7
; %bb.6:
	s_movk_i32 s4, 0xffe4
	v_mad_i32_i24 v17, v0, s4, v14
	ds_read_b32 v18, v17 offset:14848
	v_and_b32_e32 v19, 7, v4
	v_cmp_ne_u32_e32 vcc, 0, v19
	s_waitcnt lgkmcnt(0)
	v_mov_b32_dpp v20, v18 row_shr:1 row_mask:0xf bank_mask:0xf
	v_cndmask_b32_e32 v20, 0, v20, vcc
	v_add_u32_e32 v18, v20, v18
	v_cmp_lt_u32_e32 vcc, 1, v19
	s_nop 0
	v_mov_b32_dpp v20, v18 row_shr:2 row_mask:0xf bank_mask:0xf
	v_cndmask_b32_e32 v20, 0, v20, vcc
	v_add_u32_e32 v18, v18, v20
	v_cmp_lt_u32_e32 vcc, 3, v19
	s_nop 0
	v_mov_b32_dpp v20, v18 row_shr:4 row_mask:0xf bank_mask:0xf
	v_cndmask_b32_e32 v19, 0, v20, vcc
	v_add_u32_e32 v18, v18, v19
	ds_write_b32 v17, v18 offset:14848
.LBB34_7:
	s_or_b64 exec, exec, s[0:1]
	v_cmp_lt_u32_e32 vcc, 63, v0
	v_mov_b32_e32 v0, 0
	v_mov_b32_e32 v17, 0
	s_waitcnt lgkmcnt(0)
	s_barrier
	s_and_saveexec_b64 s[0:1], vcc
; %bb.8:
	ds_read_b32 v17, v16 offset:14844
; %bb.9:
	s_or_b64 exec, exec, s[0:1]
	v_subrev_co_u32_e32 v16, vcc, 1, v4
	v_and_b32_e32 v18, 64, v4
	v_cmp_lt_i32_e64 s[0:1], v16, v18
	v_cndmask_b32_e64 v4, v16, v4, s[0:1]
	s_waitcnt lgkmcnt(0)
	v_add_u32_e32 v15, v17, v15
	v_lshlrev_b32_e32 v4, 2, v4
	ds_bpermute_b32 v4, v4, v15
	ds_read_b32 v0, v0 offset:14876
	s_lshl_b64 s[0:1], s[6:7], 2
	s_add_u32 s0, s2, s0
	s_addc_u32 s1, s3, s1
	s_waitcnt lgkmcnt(1)
	v_cndmask_b32_e32 v4, v4, v17, vcc
	s_waitcnt lgkmcnt(0)
	v_lshl_add_u32 v4, v0, 16, v4
	v_add_u32_e32 v5, v4, v5
	v_add_u32_e32 v6, v5, v6
	;; [unrolled: 1-line block ×7, first 2 shown]
	ds_write_b128 v14, v[4:7]
	ds_write_b128 v14, v[0:3] offset:16
	s_waitcnt lgkmcnt(0)
	s_barrier
	ds_read_u16 v0, v11
	ds_read_u16 v1, v13
	v_lshlrev_b32_e32 v2, 2, v9
	s_waitcnt lgkmcnt(1)
	v_add_u32_sdwa v0, v0, v10 dst_sel:DWORD dst_unused:UNUSED_PAD src0_sel:DWORD src1_sel:WORD_0
	s_waitcnt lgkmcnt(0)
	v_add_u32_sdwa v1, v1, v12 dst_sel:DWORD dst_unused:UNUSED_PAD src0_sel:DWORD src1_sel:WORD_0
	global_store_dwordx2 v2, v[0:1], s[0:1]
	s_endpgm
	.section	.rodata,"a",@progbits
	.p2align	6, 0x0
	.amdhsa_kernel _Z11rank_kernelILj464ELj2ELj4ELb1EL18RadixRankAlgorithm1EcEvPKT4_Pijj
		.amdhsa_group_segment_fixed_size 14880
		.amdhsa_private_segment_fixed_size 0
		.amdhsa_kernarg_size 24
		.amdhsa_user_sgpr_count 6
		.amdhsa_user_sgpr_private_segment_buffer 1
		.amdhsa_user_sgpr_dispatch_ptr 0
		.amdhsa_user_sgpr_queue_ptr 0
		.amdhsa_user_sgpr_kernarg_segment_ptr 1
		.amdhsa_user_sgpr_dispatch_id 0
		.amdhsa_user_sgpr_flat_scratch_init 0
		.amdhsa_user_sgpr_private_segment_size 0
		.amdhsa_uses_dynamic_stack 0
		.amdhsa_system_sgpr_private_segment_wavefront_offset 0
		.amdhsa_system_sgpr_workgroup_id_x 1
		.amdhsa_system_sgpr_workgroup_id_y 0
		.amdhsa_system_sgpr_workgroup_id_z 0
		.amdhsa_system_sgpr_workgroup_info 0
		.amdhsa_system_vgpr_workitem_id 0
		.amdhsa_next_free_vgpr 29
		.amdhsa_next_free_sgpr 61
		.amdhsa_reserve_vcc 1
		.amdhsa_reserve_flat_scratch 0
		.amdhsa_float_round_mode_32 0
		.amdhsa_float_round_mode_16_64 0
		.amdhsa_float_denorm_mode_32 3
		.amdhsa_float_denorm_mode_16_64 3
		.amdhsa_dx10_clamp 1
		.amdhsa_ieee_mode 1
		.amdhsa_fp16_overflow 0
		.amdhsa_exception_fp_ieee_invalid_op 0
		.amdhsa_exception_fp_denorm_src 0
		.amdhsa_exception_fp_ieee_div_zero 0
		.amdhsa_exception_fp_ieee_overflow 0
		.amdhsa_exception_fp_ieee_underflow 0
		.amdhsa_exception_fp_ieee_inexact 0
		.amdhsa_exception_int_div_zero 0
	.end_amdhsa_kernel
	.section	.text._Z11rank_kernelILj464ELj2ELj4ELb1EL18RadixRankAlgorithm1EcEvPKT4_Pijj,"axG",@progbits,_Z11rank_kernelILj464ELj2ELj4ELb1EL18RadixRankAlgorithm1EcEvPKT4_Pijj,comdat
.Lfunc_end34:
	.size	_Z11rank_kernelILj464ELj2ELj4ELb1EL18RadixRankAlgorithm1EcEvPKT4_Pijj, .Lfunc_end34-_Z11rank_kernelILj464ELj2ELj4ELb1EL18RadixRankAlgorithm1EcEvPKT4_Pijj
                                        ; -- End function
	.set _Z11rank_kernelILj464ELj2ELj4ELb1EL18RadixRankAlgorithm1EcEvPKT4_Pijj.num_vgpr, 21
	.set _Z11rank_kernelILj464ELj2ELj4ELb1EL18RadixRankAlgorithm1EcEvPKT4_Pijj.num_agpr, 0
	.set _Z11rank_kernelILj464ELj2ELj4ELb1EL18RadixRankAlgorithm1EcEvPKT4_Pijj.numbered_sgpr, 10
	.set _Z11rank_kernelILj464ELj2ELj4ELb1EL18RadixRankAlgorithm1EcEvPKT4_Pijj.num_named_barrier, 0
	.set _Z11rank_kernelILj464ELj2ELj4ELb1EL18RadixRankAlgorithm1EcEvPKT4_Pijj.private_seg_size, 0
	.set _Z11rank_kernelILj464ELj2ELj4ELb1EL18RadixRankAlgorithm1EcEvPKT4_Pijj.uses_vcc, 1
	.set _Z11rank_kernelILj464ELj2ELj4ELb1EL18RadixRankAlgorithm1EcEvPKT4_Pijj.uses_flat_scratch, 0
	.set _Z11rank_kernelILj464ELj2ELj4ELb1EL18RadixRankAlgorithm1EcEvPKT4_Pijj.has_dyn_sized_stack, 0
	.set _Z11rank_kernelILj464ELj2ELj4ELb1EL18RadixRankAlgorithm1EcEvPKT4_Pijj.has_recursion, 0
	.set _Z11rank_kernelILj464ELj2ELj4ELb1EL18RadixRankAlgorithm1EcEvPKT4_Pijj.has_indirect_call, 0
	.section	.AMDGPU.csdata,"",@progbits
; Kernel info:
; codeLenInByte = 1004
; TotalNumSgprs: 14
; NumVgprs: 21
; ScratchSize: 0
; MemoryBound: 0
; FloatMode: 240
; IeeeMode: 1
; LDSByteSize: 14880 bytes/workgroup (compile time only)
; SGPRBlocks: 8
; VGPRBlocks: 7
; NumSGPRsForWavesPerEU: 65
; NumVGPRsForWavesPerEU: 29
; Occupancy: 8
; WaveLimiterHint : 0
; COMPUTE_PGM_RSRC2:SCRATCH_EN: 0
; COMPUTE_PGM_RSRC2:USER_SGPR: 6
; COMPUTE_PGM_RSRC2:TRAP_HANDLER: 0
; COMPUTE_PGM_RSRC2:TGID_X_EN: 1
; COMPUTE_PGM_RSRC2:TGID_Y_EN: 0
; COMPUTE_PGM_RSRC2:TGID_Z_EN: 0
; COMPUTE_PGM_RSRC2:TIDIG_COMP_CNT: 0
	.section	.text._Z11rank_kernelILj33ELj5ELj4ELb0EL18RadixRankAlgorithm1EdEvPKT4_Pijj,"axG",@progbits,_Z11rank_kernelILj33ELj5ELj4ELb0EL18RadixRankAlgorithm1EdEvPKT4_Pijj,comdat
	.protected	_Z11rank_kernelILj33ELj5ELj4ELb0EL18RadixRankAlgorithm1EdEvPKT4_Pijj ; -- Begin function _Z11rank_kernelILj33ELj5ELj4ELb0EL18RadixRankAlgorithm1EdEvPKT4_Pijj
	.globl	_Z11rank_kernelILj33ELj5ELj4ELb0EL18RadixRankAlgorithm1EdEvPKT4_Pijj
	.p2align	8
	.type	_Z11rank_kernelILj33ELj5ELj4ELb0EL18RadixRankAlgorithm1EdEvPKT4_Pijj,@function
_Z11rank_kernelILj33ELj5ELj4ELb0EL18RadixRankAlgorithm1EdEvPKT4_Pijj: ; @_Z11rank_kernelILj33ELj5ELj4ELb0EL18RadixRankAlgorithm1EdEvPKT4_Pijj
; %bb.0:
	s_load_dwordx4 s[0:3], s[4:5], 0x0
	s_mulk_i32 s6, 0xa5
	s_mov_b32 s7, 0
	s_lshl_b64 s[8:9], s[6:7], 3
	v_mul_u32_u24_e32 v11, 5, v0
	s_waitcnt lgkmcnt(0)
	s_add_u32 s0, s0, s8
	s_addc_u32 s1, s1, s9
	v_lshlrev_b32_e32 v12, 3, v11
	global_load_dwordx2 v[9:10], v12, s[0:1] offset:32
	global_load_dwordx4 v[1:4], v12, s[0:1] offset:16
	global_load_dwordx4 v[5:8], v12, s[0:1]
	s_movk_i32 s0, 0x108
	v_mov_b32_e32 v13, 0
	v_cmp_gt_u32_e32 vcc, s0, v0
	s_and_saveexec_b64 s[0:1], vcc
	s_cbranch_execz .LBB35_9
; %bb.1:
	s_movk_i32 s8, 0xe7
	v_lshlrev_b32_e32 v12, 2, v0
	v_cmp_gt_u32_e32 vcc, s8, v0
	ds_write_b32 v12, v13
	s_and_b64 exec, exec, vcc
	s_cbranch_execz .LBB35_9
; %bb.2:
	s_movk_i32 s8, 0xc6
	v_mov_b32_e32 v13, 0
	v_cmp_gt_u32_e32 vcc, s8, v0
	ds_write_b32 v12, v13 offset:132
	s_and_b64 exec, exec, vcc
	s_cbranch_execz .LBB35_9
; %bb.3:
	s_movk_i32 s8, 0xa5
	v_cmp_gt_u32_e32 vcc, s8, v0
	ds_write_b32 v12, v13 offset:264
	s_and_b64 exec, exec, vcc
	s_cbranch_execz .LBB35_9
; %bb.4:
	s_movk_i32 s8, 0x84
	v_mov_b32_e32 v13, 0
	v_cmp_gt_u32_e32 vcc, s8, v0
	ds_write_b32 v12, v13 offset:396
	s_and_b64 exec, exec, vcc
	s_cbranch_execz .LBB35_9
; %bb.5:
	s_movk_i32 s8, 0x63
	v_cmp_gt_u32_e32 vcc, s8, v0
	ds_write_b32 v12, v13 offset:528
	s_and_b64 exec, exec, vcc
	s_cbranch_execz .LBB35_9
; %bb.6:
	s_movk_i32 s8, 0x42
	v_mov_b32_e32 v13, 0
	v_cmp_gt_u32_e32 vcc, s8, v0
	ds_write_b32 v12, v13 offset:660
	s_and_b64 exec, exec, vcc
	s_cbranch_execz .LBB35_9
; %bb.7:
	v_cmp_gt_u32_e32 vcc, 33, v0
	ds_write_b32 v12, v13 offset:792
	s_and_b64 exec, exec, vcc
; %bb.8:
	v_mov_b32_e32 v13, 0
	ds_write_b32 v12, v13 offset:924
.LBB35_9:
	s_or_b64 exec, exec, s[0:1]
	s_load_dwordx2 s[4:5], s[4:5], 0x10
	s_waitcnt lgkmcnt(0)
	s_and_b32 s5, s5, 63
	s_cmp_lg_u32 s5, 0
	s_cselect_b64 s[8:9], -1, 0
	s_sub_u32 s10, 64, s5
	s_and_b64 vcc, exec, s[8:9]
	s_cbranch_vccz .LBB35_11
; %bb.10:
	s_waitcnt vmcnt(0)
	v_cmp_lt_i64_e32 vcc, -1, v[5:6]
	v_bfrev_b32_e32 v12, 1
	s_mov_b32 s0, -1
	v_cndmask_b32_e32 v13, -1, v12, vcc
	v_ashrrev_i32_e32 v14, 31, v6
	s_brev_b32 s1, -2
	v_xor_b32_e32 v6, v13, v6
	v_xor_b32_e32 v5, v14, v5
	v_cmp_ne_u64_e32 vcc, s[0:1], v[5:6]
	s_and_b32 s0, s4, 63
	s_add_i32 s0, s0, s5
	v_cndmask_b32_e32 v6, v12, v6, vcc
	v_cndmask_b32_e32 v5, 0, v5, vcc
	s_sub_i32 s0, 64, s0
	v_lshlrev_b64 v[5:6], s0, v[5:6]
	v_lshrrev_b64 v[5:6], s10, v[5:6]
	s_branch .LBB35_12
.LBB35_11:
	s_waitcnt vmcnt(0)
	v_mov_b32_e32 v5, 0
.LBB35_12:
	v_and_b32_e32 v6, 7, v5
	v_lshrrev_b32_e32 v5, 2, v5
	v_mad_u32_u24 v6, v6, 33, v0
	v_and_b32_e32 v5, 0x3ffffffe, v5
	v_lshl_add_u32 v13, v6, 2, v5
	ds_read_u16 v12, v13
	v_cndmask_b32_e64 v6, 0, 1, s[8:9]
	v_mov_b32_e32 v5, 0
	v_cmp_ne_u32_e64 s[0:1], 1, v6
	s_andn2_b64 vcc, exec, s[8:9]
	s_waitcnt lgkmcnt(0)
	v_add_u16_e32 v14, 1, v12
	v_mov_b32_e32 v6, 0
	ds_write_b16 v13, v14
	s_cbranch_vccnz .LBB35_14
; %bb.13:
	v_cmp_lt_i64_e32 vcc, -1, v[7:8]
	v_bfrev_b32_e32 v6, 1
	s_mov_b32 s8, -1
	v_cndmask_b32_e32 v14, -1, v6, vcc
	v_ashrrev_i32_e32 v15, 31, v8
	s_brev_b32 s9, -2
	v_xor_b32_e32 v8, v14, v8
	v_xor_b32_e32 v7, v15, v7
	v_cmp_ne_u64_e32 vcc, s[8:9], v[7:8]
	s_and_b32 s8, s4, 63
	s_add_i32 s8, s8, s5
	v_cndmask_b32_e32 v8, v6, v8, vcc
	v_cndmask_b32_e32 v7, 0, v7, vcc
	s_sub_i32 s8, 64, s8
	v_lshlrev_b64 v[6:7], s8, v[7:8]
	v_lshrrev_b64 v[6:7], s10, v[6:7]
.LBB35_14:
	v_and_b32_e32 v7, 7, v6
	v_lshrrev_b32_e32 v6, 2, v6
	v_mad_u32_u24 v7, v7, 33, v0
	v_and_b32_e32 v6, 0x3ffffffe, v6
	v_lshl_add_u32 v15, v7, 2, v6
	ds_read_u16 v14, v15
	s_and_b64 vcc, exec, s[0:1]
	s_waitcnt lgkmcnt(0)
	v_add_u16_e32 v6, 1, v14
	ds_write_b16 v15, v6
	s_cbranch_vccnz .LBB35_16
; %bb.15:
	v_cmp_lt_i64_e32 vcc, -1, v[1:2]
	v_bfrev_b32_e32 v5, 1
	s_mov_b32 s8, -1
	v_cndmask_b32_e32 v6, -1, v5, vcc
	v_ashrrev_i32_e32 v7, 31, v2
	s_brev_b32 s9, -2
	v_xor_b32_e32 v2, v6, v2
	v_xor_b32_e32 v1, v7, v1
	v_cmp_ne_u64_e32 vcc, s[8:9], v[1:2]
	s_and_b32 s8, s4, 63
	s_add_i32 s8, s8, s5
	v_cndmask_b32_e32 v2, v5, v2, vcc
	v_cndmask_b32_e32 v1, 0, v1, vcc
	s_sub_i32 s8, 64, s8
	v_lshlrev_b64 v[1:2], s8, v[1:2]
	v_lshrrev_b64 v[5:6], s10, v[1:2]
.LBB35_16:
	v_and_b32_e32 v1, 7, v5
	v_lshrrev_b32_e32 v2, 2, v5
	v_mad_u32_u24 v1, v1, 33, v0
	v_and_b32_e32 v2, 0x3ffffffe, v2
	v_lshl_add_u32 v17, v1, 2, v2
	ds_read_u16 v16, v17
	v_mov_b32_e32 v1, 0
	s_and_b64 vcc, exec, s[0:1]
	s_waitcnt lgkmcnt(0)
	v_add_u16_e32 v2, 1, v16
	ds_write_b16 v17, v2
	v_mov_b32_e32 v2, 0
	s_cbranch_vccnz .LBB35_18
; %bb.17:
	v_cmp_lt_i64_e32 vcc, -1, v[3:4]
	v_bfrev_b32_e32 v2, 1
	s_mov_b32 s8, -1
	v_cndmask_b32_e32 v5, -1, v2, vcc
	v_ashrrev_i32_e32 v6, 31, v4
	s_brev_b32 s9, -2
	v_xor_b32_e32 v4, v5, v4
	v_xor_b32_e32 v3, v6, v3
	v_cmp_ne_u64_e32 vcc, s[8:9], v[3:4]
	s_and_b32 s8, s4, 63
	s_add_i32 s8, s8, s5
	v_cndmask_b32_e32 v4, v2, v4, vcc
	v_cndmask_b32_e32 v3, 0, v3, vcc
	s_sub_i32 s8, 64, s8
	v_lshlrev_b64 v[2:3], s8, v[3:4]
	v_lshrrev_b64 v[2:3], s10, v[2:3]
.LBB35_18:
	v_and_b32_e32 v3, 7, v2
	v_lshrrev_b32_e32 v2, 2, v2
	v_mad_u32_u24 v3, v3, 33, v0
	v_and_b32_e32 v2, 0x3ffffffe, v2
	v_lshl_add_u32 v19, v3, 2, v2
	ds_read_u16 v18, v19
	s_and_b64 vcc, exec, s[0:1]
	s_waitcnt lgkmcnt(0)
	v_add_u16_e32 v2, 1, v18
	ds_write_b16 v19, v2
	s_cbranch_vccnz .LBB35_20
; %bb.19:
	v_cmp_lt_i64_e32 vcc, -1, v[9:10]
	v_bfrev_b32_e32 v3, 1
	s_mov_b32 s0, -1
	v_cndmask_b32_e32 v1, -1, v3, vcc
	v_ashrrev_i32_e32 v4, 31, v10
	s_brev_b32 s1, -2
	v_xor_b32_e32 v2, v1, v10
	v_xor_b32_e32 v1, v4, v9
	v_cmp_ne_u64_e32 vcc, s[0:1], v[1:2]
	s_and_b32 s0, s4, 63
	s_add_i32 s0, s0, s5
	v_cndmask_b32_e32 v2, v3, v2, vcc
	v_cndmask_b32_e32 v1, 0, v1, vcc
	s_sub_i32 s0, 64, s0
	v_lshlrev_b64 v[1:2], s0, v[1:2]
	v_lshrrev_b64 v[1:2], s10, v[1:2]
.LBB35_20:
	v_and_b32_e32 v2, 7, v1
	v_lshrrev_b32_e32 v1, 2, v1
	v_mad_u32_u24 v2, v2, 33, v0
	v_and_b32_e32 v1, 0x3ffffffe, v1
	v_lshl_add_u32 v10, v2, 2, v1
	ds_read_u16 v9, v10
	v_lshlrev_b32_e32 v20, 5, v0
	v_mbcnt_lo_u32_b32 v21, -1, 0
	s_waitcnt lgkmcnt(0)
	v_add_u16_e32 v1, 1, v9
	ds_write_b16 v10, v1
	s_waitcnt lgkmcnt(0)
	; wave barrier
	ds_read_b128 v[5:8], v20
	ds_read_b128 v[1:4], v20 offset:16
	s_waitcnt lgkmcnt(1)
	v_add_u32_e32 v22, v6, v5
	v_add3_u32 v22, v22, v7, v8
	s_waitcnt lgkmcnt(0)
	v_add3_u32 v22, v22, v1, v2
	v_add3_u32 v22, v22, v3, v4
	v_mbcnt_hi_u32_b32 v4, -1, v21
	v_and_b32_e32 v21, 15, v4
	v_mov_b32_dpp v23, v22 row_shr:1 row_mask:0xf bank_mask:0xf
	v_cmp_ne_u32_e32 vcc, 0, v21
	v_cndmask_b32_e32 v23, 0, v23, vcc
	v_add_u32_e32 v22, v23, v22
	v_cmp_lt_u32_e32 vcc, 1, v21
	s_nop 0
	v_mov_b32_dpp v23, v22 row_shr:2 row_mask:0xf bank_mask:0xf
	v_cndmask_b32_e32 v23, 0, v23, vcc
	v_add_u32_e32 v22, v22, v23
	v_cmp_lt_u32_e32 vcc, 3, v21
	s_nop 0
	v_mov_b32_dpp v23, v22 row_shr:4 row_mask:0xf bank_mask:0xf
	;; [unrolled: 5-line block ×3, first 2 shown]
	v_cndmask_b32_e32 v21, 0, v23, vcc
	v_add_u32_e32 v21, v22, v21
	v_bfe_i32 v23, v4, 4, 1
	v_cmp_lt_u32_e32 vcc, 31, v4
	v_mov_b32_dpp v22, v21 row_bcast:15 row_mask:0xf bank_mask:0xf
	v_and_b32_e32 v22, v23, v22
	v_add_u32_e32 v21, v21, v22
	s_nop 1
	v_mov_b32_dpp v22, v21 row_bcast:31 row_mask:0xf bank_mask:0xf
	v_cndmask_b32_e32 v22, 0, v22, vcc
	v_add_u32_e32 v21, v21, v22
	v_cmp_eq_u32_e32 vcc, 32, v0
	s_and_saveexec_b64 s[0:1], vcc
; %bb.21:
	v_mov_b32_e32 v0, 0
	ds_write_b32 v0, v21 offset:1056
; %bb.22:
	s_or_b64 exec, exec, s[0:1]
	v_subrev_co_u32_e32 v0, vcc, 1, v4
	v_and_b32_e32 v22, 64, v4
	v_cmp_lt_i32_e64 s[0:1], v0, v22
	v_cndmask_b32_e64 v0, v0, v4, s[0:1]
	v_lshlrev_b32_e32 v0, 2, v0
	ds_bpermute_b32 v0, v0, v21
	v_mov_b32_e32 v4, 0
	s_waitcnt lgkmcnt(0)
	; wave barrier
	ds_read_b32 v4, v4 offset:1056
	v_cndmask_b32_e64 v0, v0, 0, vcc
	s_lshl_b64 s[0:1], s[6:7], 2
	s_add_u32 s0, s2, s0
	s_addc_u32 s1, s3, s1
	s_waitcnt lgkmcnt(0)
	v_lshl_add_u32 v4, v4, 16, v0
	v_add_u32_e32 v5, v4, v5
	v_add_u32_e32 v6, v5, v6
	;; [unrolled: 1-line block ×7, first 2 shown]
	ds_write_b128 v20, v[4:7]
	ds_write_b128 v20, v[0:3] offset:16
	s_waitcnt lgkmcnt(0)
	; wave barrier
	ds_read_u16 v0, v13
	ds_read_u16 v1, v15
	;; [unrolled: 1-line block ×5, first 2 shown]
	s_waitcnt lgkmcnt(4)
	v_add_u32_sdwa v0, v0, v12 dst_sel:DWORD dst_unused:UNUSED_PAD src0_sel:DWORD src1_sel:WORD_0
	s_waitcnt lgkmcnt(3)
	v_add_u32_sdwa v1, v1, v14 dst_sel:DWORD dst_unused:UNUSED_PAD src0_sel:DWORD src1_sel:WORD_0
	;; [unrolled: 2-line block ×4, first 2 shown]
	v_lshlrev_b32_e32 v5, 2, v11
	s_waitcnt lgkmcnt(0)
	v_add_u32_sdwa v4, v4, v9 dst_sel:DWORD dst_unused:UNUSED_PAD src0_sel:DWORD src1_sel:WORD_0
	global_store_dwordx4 v5, v[0:3], s[0:1]
	global_store_dword v5, v4, s[0:1] offset:16
	s_endpgm
	.section	.rodata,"a",@progbits
	.p2align	6, 0x0
	.amdhsa_kernel _Z11rank_kernelILj33ELj5ELj4ELb0EL18RadixRankAlgorithm1EdEvPKT4_Pijj
		.amdhsa_group_segment_fixed_size 1328
		.amdhsa_private_segment_fixed_size 0
		.amdhsa_kernarg_size 24
		.amdhsa_user_sgpr_count 6
		.amdhsa_user_sgpr_private_segment_buffer 1
		.amdhsa_user_sgpr_dispatch_ptr 0
		.amdhsa_user_sgpr_queue_ptr 0
		.amdhsa_user_sgpr_kernarg_segment_ptr 1
		.amdhsa_user_sgpr_dispatch_id 0
		.amdhsa_user_sgpr_flat_scratch_init 0
		.amdhsa_user_sgpr_private_segment_size 0
		.amdhsa_uses_dynamic_stack 0
		.amdhsa_system_sgpr_private_segment_wavefront_offset 0
		.amdhsa_system_sgpr_workgroup_id_x 1
		.amdhsa_system_sgpr_workgroup_id_y 0
		.amdhsa_system_sgpr_workgroup_id_z 0
		.amdhsa_system_sgpr_workgroup_info 0
		.amdhsa_system_vgpr_workitem_id 0
		.amdhsa_next_free_vgpr 24
		.amdhsa_next_free_sgpr 11
		.amdhsa_reserve_vcc 1
		.amdhsa_reserve_flat_scratch 0
		.amdhsa_float_round_mode_32 0
		.amdhsa_float_round_mode_16_64 0
		.amdhsa_float_denorm_mode_32 3
		.amdhsa_float_denorm_mode_16_64 3
		.amdhsa_dx10_clamp 1
		.amdhsa_ieee_mode 1
		.amdhsa_fp16_overflow 0
		.amdhsa_exception_fp_ieee_invalid_op 0
		.amdhsa_exception_fp_denorm_src 0
		.amdhsa_exception_fp_ieee_div_zero 0
		.amdhsa_exception_fp_ieee_overflow 0
		.amdhsa_exception_fp_ieee_underflow 0
		.amdhsa_exception_fp_ieee_inexact 0
		.amdhsa_exception_int_div_zero 0
	.end_amdhsa_kernel
	.section	.text._Z11rank_kernelILj33ELj5ELj4ELb0EL18RadixRankAlgorithm1EdEvPKT4_Pijj,"axG",@progbits,_Z11rank_kernelILj33ELj5ELj4ELb0EL18RadixRankAlgorithm1EdEvPKT4_Pijj,comdat
.Lfunc_end35:
	.size	_Z11rank_kernelILj33ELj5ELj4ELb0EL18RadixRankAlgorithm1EdEvPKT4_Pijj, .Lfunc_end35-_Z11rank_kernelILj33ELj5ELj4ELb0EL18RadixRankAlgorithm1EdEvPKT4_Pijj
                                        ; -- End function
	.set _Z11rank_kernelILj33ELj5ELj4ELb0EL18RadixRankAlgorithm1EdEvPKT4_Pijj.num_vgpr, 24
	.set _Z11rank_kernelILj33ELj5ELj4ELb0EL18RadixRankAlgorithm1EdEvPKT4_Pijj.num_agpr, 0
	.set _Z11rank_kernelILj33ELj5ELj4ELb0EL18RadixRankAlgorithm1EdEvPKT4_Pijj.numbered_sgpr, 11
	.set _Z11rank_kernelILj33ELj5ELj4ELb0EL18RadixRankAlgorithm1EdEvPKT4_Pijj.num_named_barrier, 0
	.set _Z11rank_kernelILj33ELj5ELj4ELb0EL18RadixRankAlgorithm1EdEvPKT4_Pijj.private_seg_size, 0
	.set _Z11rank_kernelILj33ELj5ELj4ELb0EL18RadixRankAlgorithm1EdEvPKT4_Pijj.uses_vcc, 1
	.set _Z11rank_kernelILj33ELj5ELj4ELb0EL18RadixRankAlgorithm1EdEvPKT4_Pijj.uses_flat_scratch, 0
	.set _Z11rank_kernelILj33ELj5ELj4ELb0EL18RadixRankAlgorithm1EdEvPKT4_Pijj.has_dyn_sized_stack, 0
	.set _Z11rank_kernelILj33ELj5ELj4ELb0EL18RadixRankAlgorithm1EdEvPKT4_Pijj.has_recursion, 0
	.set _Z11rank_kernelILj33ELj5ELj4ELb0EL18RadixRankAlgorithm1EdEvPKT4_Pijj.has_indirect_call, 0
	.section	.AMDGPU.csdata,"",@progbits
; Kernel info:
; codeLenInByte = 1532
; TotalNumSgprs: 15
; NumVgprs: 24
; ScratchSize: 0
; MemoryBound: 0
; FloatMode: 240
; IeeeMode: 1
; LDSByteSize: 1328 bytes/workgroup (compile time only)
; SGPRBlocks: 1
; VGPRBlocks: 5
; NumSGPRsForWavesPerEU: 15
; NumVGPRsForWavesPerEU: 24
; Occupancy: 10
; WaveLimiterHint : 0
; COMPUTE_PGM_RSRC2:SCRATCH_EN: 0
; COMPUTE_PGM_RSRC2:USER_SGPR: 6
; COMPUTE_PGM_RSRC2:TRAP_HANDLER: 0
; COMPUTE_PGM_RSRC2:TGID_X_EN: 1
; COMPUTE_PGM_RSRC2:TGID_Y_EN: 0
; COMPUTE_PGM_RSRC2:TGID_Z_EN: 0
; COMPUTE_PGM_RSRC2:TIDIG_COMP_CNT: 0
	.section	.text._Z11rank_kernelILj512ELj2ELj4ELb0EL18RadixRankAlgorithm1EfEvPKT4_Pijj,"axG",@progbits,_Z11rank_kernelILj512ELj2ELj4ELb0EL18RadixRankAlgorithm1EfEvPKT4_Pijj,comdat
	.protected	_Z11rank_kernelILj512ELj2ELj4ELb0EL18RadixRankAlgorithm1EfEvPKT4_Pijj ; -- Begin function _Z11rank_kernelILj512ELj2ELj4ELb0EL18RadixRankAlgorithm1EfEvPKT4_Pijj
	.globl	_Z11rank_kernelILj512ELj2ELj4ELb0EL18RadixRankAlgorithm1EfEvPKT4_Pijj
	.p2align	8
	.type	_Z11rank_kernelILj512ELj2ELj4ELb0EL18RadixRankAlgorithm1EfEvPKT4_Pijj,@function
_Z11rank_kernelILj512ELj2ELj4ELb0EL18RadixRankAlgorithm1EfEvPKT4_Pijj: ; @_Z11rank_kernelILj512ELj2ELj4ELb0EL18RadixRankAlgorithm1EfEvPKT4_Pijj
; %bb.0:
	s_load_dwordx4 s[0:3], s[4:5], 0x0
	s_lshl_b32 s6, s6, 10
	s_mov_b32 s7, 0
	s_lshl_b64 s[6:7], s[6:7], 2
	v_lshlrev_b32_e32 v1, 3, v0
	s_waitcnt lgkmcnt(0)
	s_add_u32 s0, s0, s6
	s_addc_u32 s1, s1, s7
	global_load_dwordx2 v[1:2], v1, s[0:1]
	v_or_b32_e32 v5, 0xc00, v0
	s_movk_i32 s8, 0xe00
	v_mov_b32_e32 v4, 0
	v_lshlrev_b32_e32 v3, 2, v0
	v_cmp_gt_u32_e32 vcc, s8, v5
	ds_write2st64_b32 v3, v4, v4 offset1:8
	ds_write2st64_b32 v3, v4, v4 offset0:16 offset1:24
	ds_write2st64_b32 v3, v4, v4 offset0:32 offset1:40
	ds_write_b32 v3, v4 offset:12288
	s_and_saveexec_b64 s[0:1], vcc
; %bb.1:
	ds_write_b32 v3, v4 offset:14336
; %bb.2:
	s_or_b64 exec, exec, s[0:1]
	s_load_dwordx2 s[0:1], s[4:5], 0x10
	v_bfrev_b32_e32 v4, 1
	s_waitcnt vmcnt(0)
	v_cmp_lt_i32_e32 vcc, -1, v1
	v_cndmask_b32_e32 v5, -1, v4, vcc
	v_xor_b32_e32 v1, v5, v1
	s_waitcnt lgkmcnt(0)
	s_and_b32 s1, s1, 31
	s_cmp_eq_u32 s1, 0
	s_cselect_b64 s[4:5], -1, 0
	s_and_b32 s0, s0, 31
	s_brev_b32 s9, -2
	s_add_i32 s0, s0, s1
	v_cmp_ne_u32_e32 vcc, s9, v1
	s_sub_i32 s0, 32, s0
	v_cndmask_b32_e32 v1, v4, v1, vcc
	s_sub_i32 s1, 32, s1
	v_lshlrev_b32_e32 v1, s0, v1
	v_lshrrev_b32_e32 v1, s1, v1
	v_cndmask_b32_e64 v1, v1, 0, s[4:5]
	v_lshlrev_b32_e32 v5, 9, v1
	v_lshrrev_b32_e32 v1, 2, v1
	v_and_or_b32 v5, v5, s8, v0
	v_and_b32_e32 v1, 0x3ffffffe, v1
	v_cmp_lt_i32_e32 vcc, -1, v2
	v_lshl_add_u32 v10, v5, 2, v1
	v_cndmask_b32_e32 v1, -1, v4, vcc
	ds_read_u16 v9, v10
	v_xor_b32_e32 v1, v1, v2
	v_cmp_ne_u32_e32 vcc, s9, v1
	v_cndmask_b32_e32 v1, v4, v1, vcc
	v_lshlrev_b32_e32 v1, s0, v1
	v_lshrrev_b32_e32 v1, s1, v1
	s_waitcnt lgkmcnt(0)
	v_add_u16_e32 v2, 1, v9
	v_cndmask_b32_e64 v1, v1, 0, s[4:5]
	ds_write_b16 v10, v2
	v_lshlrev_b32_e32 v2, 9, v1
	v_lshrrev_b32_e32 v1, 2, v1
	v_and_or_b32 v2, v2, s8, v0
	v_and_b32_e32 v1, 0x3ffffffe, v1
	v_lshl_add_u32 v12, v2, 2, v1
	ds_read_u16 v11, v12
	v_mad_u32_u24 v13, v0, 28, v3
	s_waitcnt lgkmcnt(0)
	v_add_u16_e32 v1, 1, v11
	ds_write_b16 v12, v1
	s_waitcnt lgkmcnt(0)
	s_barrier
	ds_read_b128 v[5:8], v13
	ds_read_b128 v[1:4], v13 offset:16
	s_waitcnt lgkmcnt(1)
	v_add_u32_e32 v14, v6, v5
	v_add3_u32 v14, v14, v7, v8
	s_waitcnt lgkmcnt(0)
	v_add3_u32 v14, v14, v1, v2
	v_add3_u32 v14, v14, v3, v4
	v_mbcnt_lo_u32_b32 v4, -1, 0
	v_mbcnt_hi_u32_b32 v4, -1, v4
	v_and_b32_e32 v15, 15, v4
	v_mov_b32_dpp v16, v14 row_shr:1 row_mask:0xf bank_mask:0xf
	v_cmp_ne_u32_e32 vcc, 0, v15
	v_cndmask_b32_e32 v16, 0, v16, vcc
	v_add_u32_e32 v14, v16, v14
	v_cmp_lt_u32_e32 vcc, 1, v15
	s_nop 0
	v_mov_b32_dpp v16, v14 row_shr:2 row_mask:0xf bank_mask:0xf
	v_cndmask_b32_e32 v16, 0, v16, vcc
	v_add_u32_e32 v14, v14, v16
	v_cmp_lt_u32_e32 vcc, 3, v15
	s_nop 0
	v_mov_b32_dpp v16, v14 row_shr:4 row_mask:0xf bank_mask:0xf
	;; [unrolled: 5-line block ×3, first 2 shown]
	v_cndmask_b32_e32 v15, 0, v16, vcc
	v_add_u32_e32 v14, v14, v15
	v_bfe_i32 v16, v4, 4, 1
	v_cmp_lt_u32_e32 vcc, 31, v4
	v_mov_b32_dpp v15, v14 row_bcast:15 row_mask:0xf bank_mask:0xf
	v_and_b32_e32 v15, v16, v15
	v_add_u32_e32 v14, v14, v15
	v_or_b32_e32 v16, 63, v0
	s_nop 0
	v_mov_b32_dpp v15, v14 row_bcast:31 row_mask:0xf bank_mask:0xf
	v_cndmask_b32_e32 v15, 0, v15, vcc
	v_add_u32_e32 v15, v14, v15
	v_lshrrev_b32_e32 v14, 6, v0
	v_cmp_eq_u32_e32 vcc, v0, v16
	v_lshlrev_b32_e32 v16, 2, v14
	s_and_saveexec_b64 s[0:1], vcc
; %bb.3:
	ds_write_b32 v16, v15 offset:16384
; %bb.4:
	s_or_b64 exec, exec, s[0:1]
	v_lshlrev_b32_e32 v14, 1, v0
	v_cmp_gt_u32_e32 vcc, 8, v0
	s_waitcnt lgkmcnt(0)
	s_barrier
	s_and_saveexec_b64 s[0:1], vcc
	s_cbranch_execz .LBB36_6
; %bb.5:
	s_movk_i32 s4, 0xffe4
	v_mad_i32_i24 v17, v0, s4, v13
	ds_read_b32 v18, v17 offset:16384
	v_and_b32_e32 v19, 7, v4
	v_cmp_ne_u32_e32 vcc, 0, v19
	s_waitcnt lgkmcnt(0)
	v_mov_b32_dpp v20, v18 row_shr:1 row_mask:0xf bank_mask:0xf
	v_cndmask_b32_e32 v20, 0, v20, vcc
	v_add_u32_e32 v18, v20, v18
	v_cmp_lt_u32_e32 vcc, 1, v19
	s_nop 0
	v_mov_b32_dpp v20, v18 row_shr:2 row_mask:0xf bank_mask:0xf
	v_cndmask_b32_e32 v20, 0, v20, vcc
	v_add_u32_e32 v18, v18, v20
	v_cmp_lt_u32_e32 vcc, 3, v19
	s_nop 0
	v_mov_b32_dpp v20, v18 row_shr:4 row_mask:0xf bank_mask:0xf
	v_cndmask_b32_e32 v19, 0, v20, vcc
	v_add_u32_e32 v18, v18, v19
	ds_write_b32 v17, v18 offset:16384
.LBB36_6:
	s_or_b64 exec, exec, s[0:1]
	v_cmp_lt_u32_e32 vcc, 63, v0
	v_mov_b32_e32 v0, 0
	v_mov_b32_e32 v17, 0
	s_waitcnt lgkmcnt(0)
	s_barrier
	s_and_saveexec_b64 s[0:1], vcc
; %bb.7:
	ds_read_b32 v17, v16 offset:16380
; %bb.8:
	s_or_b64 exec, exec, s[0:1]
	v_subrev_co_u32_e32 v16, vcc, 1, v4
	v_and_b32_e32 v18, 64, v4
	v_cmp_lt_i32_e64 s[0:1], v16, v18
	v_cndmask_b32_e64 v4, v16, v4, s[0:1]
	s_waitcnt lgkmcnt(0)
	v_add_u32_e32 v15, v17, v15
	v_lshlrev_b32_e32 v4, 2, v4
	ds_bpermute_b32 v4, v4, v15
	ds_read_b32 v0, v0 offset:16412
	s_add_u32 s0, s2, s6
	s_addc_u32 s1, s3, s7
	s_waitcnt lgkmcnt(1)
	v_cndmask_b32_e32 v4, v4, v17, vcc
	s_waitcnt lgkmcnt(0)
	v_lshl_add_u32 v4, v0, 16, v4
	v_add_u32_e32 v5, v4, v5
	v_add_u32_e32 v6, v5, v6
	;; [unrolled: 1-line block ×7, first 2 shown]
	ds_write_b128 v13, v[4:7]
	ds_write_b128 v13, v[0:3] offset:16
	s_waitcnt lgkmcnt(0)
	s_barrier
	ds_read_u16 v0, v10
	ds_read_u16 v1, v12
	v_lshlrev_b32_e32 v2, 2, v14
	s_waitcnt lgkmcnt(1)
	v_add_u32_sdwa v0, v0, v9 dst_sel:DWORD dst_unused:UNUSED_PAD src0_sel:DWORD src1_sel:WORD_0
	s_waitcnt lgkmcnt(0)
	v_add_u32_sdwa v1, v1, v11 dst_sel:DWORD dst_unused:UNUSED_PAD src0_sel:DWORD src1_sel:WORD_0
	global_store_dwordx2 v2, v[0:1], s[0:1]
	s_endpgm
	.section	.rodata,"a",@progbits
	.p2align	6, 0x0
	.amdhsa_kernel _Z11rank_kernelILj512ELj2ELj4ELb0EL18RadixRankAlgorithm1EfEvPKT4_Pijj
		.amdhsa_group_segment_fixed_size 16416
		.amdhsa_private_segment_fixed_size 0
		.amdhsa_kernarg_size 24
		.amdhsa_user_sgpr_count 6
		.amdhsa_user_sgpr_private_segment_buffer 1
		.amdhsa_user_sgpr_dispatch_ptr 0
		.amdhsa_user_sgpr_queue_ptr 0
		.amdhsa_user_sgpr_kernarg_segment_ptr 1
		.amdhsa_user_sgpr_dispatch_id 0
		.amdhsa_user_sgpr_flat_scratch_init 0
		.amdhsa_user_sgpr_private_segment_size 0
		.amdhsa_uses_dynamic_stack 0
		.amdhsa_system_sgpr_private_segment_wavefront_offset 0
		.amdhsa_system_sgpr_workgroup_id_x 1
		.amdhsa_system_sgpr_workgroup_id_y 0
		.amdhsa_system_sgpr_workgroup_id_z 0
		.amdhsa_system_sgpr_workgroup_info 0
		.amdhsa_system_vgpr_workitem_id 0
		.amdhsa_next_free_vgpr 37
		.amdhsa_next_free_sgpr 93
		.amdhsa_reserve_vcc 1
		.amdhsa_reserve_flat_scratch 0
		.amdhsa_float_round_mode_32 0
		.amdhsa_float_round_mode_16_64 0
		.amdhsa_float_denorm_mode_32 3
		.amdhsa_float_denorm_mode_16_64 3
		.amdhsa_dx10_clamp 1
		.amdhsa_ieee_mode 1
		.amdhsa_fp16_overflow 0
		.amdhsa_exception_fp_ieee_invalid_op 0
		.amdhsa_exception_fp_denorm_src 0
		.amdhsa_exception_fp_ieee_div_zero 0
		.amdhsa_exception_fp_ieee_overflow 0
		.amdhsa_exception_fp_ieee_underflow 0
		.amdhsa_exception_fp_ieee_inexact 0
		.amdhsa_exception_int_div_zero 0
	.end_amdhsa_kernel
	.section	.text._Z11rank_kernelILj512ELj2ELj4ELb0EL18RadixRankAlgorithm1EfEvPKT4_Pijj,"axG",@progbits,_Z11rank_kernelILj512ELj2ELj4ELb0EL18RadixRankAlgorithm1EfEvPKT4_Pijj,comdat
.Lfunc_end36:
	.size	_Z11rank_kernelILj512ELj2ELj4ELb0EL18RadixRankAlgorithm1EfEvPKT4_Pijj, .Lfunc_end36-_Z11rank_kernelILj512ELj2ELj4ELb0EL18RadixRankAlgorithm1EfEvPKT4_Pijj
                                        ; -- End function
	.set _Z11rank_kernelILj512ELj2ELj4ELb0EL18RadixRankAlgorithm1EfEvPKT4_Pijj.num_vgpr, 21
	.set _Z11rank_kernelILj512ELj2ELj4ELb0EL18RadixRankAlgorithm1EfEvPKT4_Pijj.num_agpr, 0
	.set _Z11rank_kernelILj512ELj2ELj4ELb0EL18RadixRankAlgorithm1EfEvPKT4_Pijj.numbered_sgpr, 10
	.set _Z11rank_kernelILj512ELj2ELj4ELb0EL18RadixRankAlgorithm1EfEvPKT4_Pijj.num_named_barrier, 0
	.set _Z11rank_kernelILj512ELj2ELj4ELb0EL18RadixRankAlgorithm1EfEvPKT4_Pijj.private_seg_size, 0
	.set _Z11rank_kernelILj512ELj2ELj4ELb0EL18RadixRankAlgorithm1EfEvPKT4_Pijj.uses_vcc, 1
	.set _Z11rank_kernelILj512ELj2ELj4ELb0EL18RadixRankAlgorithm1EfEvPKT4_Pijj.uses_flat_scratch, 0
	.set _Z11rank_kernelILj512ELj2ELj4ELb0EL18RadixRankAlgorithm1EfEvPKT4_Pijj.has_dyn_sized_stack, 0
	.set _Z11rank_kernelILj512ELj2ELj4ELb0EL18RadixRankAlgorithm1EfEvPKT4_Pijj.has_recursion, 0
	.set _Z11rank_kernelILj512ELj2ELj4ELb0EL18RadixRankAlgorithm1EfEvPKT4_Pijj.has_indirect_call, 0
	.section	.AMDGPU.csdata,"",@progbits
; Kernel info:
; codeLenInByte = 968
; TotalNumSgprs: 14
; NumVgprs: 21
; ScratchSize: 0
; MemoryBound: 0
; FloatMode: 240
; IeeeMode: 1
; LDSByteSize: 16416 bytes/workgroup (compile time only)
; SGPRBlocks: 12
; VGPRBlocks: 9
; NumSGPRsForWavesPerEU: 97
; NumVGPRsForWavesPerEU: 37
; Occupancy: 6
; WaveLimiterHint : 0
; COMPUTE_PGM_RSRC2:SCRATCH_EN: 0
; COMPUTE_PGM_RSRC2:USER_SGPR: 6
; COMPUTE_PGM_RSRC2:TRAP_HANDLER: 0
; COMPUTE_PGM_RSRC2:TGID_X_EN: 1
; COMPUTE_PGM_RSRC2:TGID_Y_EN: 0
; COMPUTE_PGM_RSRC2:TGID_Z_EN: 0
; COMPUTE_PGM_RSRC2:TIDIG_COMP_CNT: 0
	.section	.text._Z11rank_kernelILj256ELj7ELj4ELb0EL18RadixRankAlgorithm1EtEvPKT4_Pijj,"axG",@progbits,_Z11rank_kernelILj256ELj7ELj4ELb0EL18RadixRankAlgorithm1EtEvPKT4_Pijj,comdat
	.protected	_Z11rank_kernelILj256ELj7ELj4ELb0EL18RadixRankAlgorithm1EtEvPKT4_Pijj ; -- Begin function _Z11rank_kernelILj256ELj7ELj4ELb0EL18RadixRankAlgorithm1EtEvPKT4_Pijj
	.globl	_Z11rank_kernelILj256ELj7ELj4ELb0EL18RadixRankAlgorithm1EtEvPKT4_Pijj
	.p2align	8
	.type	_Z11rank_kernelILj256ELj7ELj4ELb0EL18RadixRankAlgorithm1EtEvPKT4_Pijj,@function
_Z11rank_kernelILj256ELj7ELj4ELb0EL18RadixRankAlgorithm1EtEvPKT4_Pijj: ; @_Z11rank_kernelILj256ELj7ELj4ELb0EL18RadixRankAlgorithm1EtEvPKT4_Pijj
; %bb.0:
	s_load_dwordx4 s[0:3], s[4:5], 0x0
	s_mulk_i32 s6, 0x700
	s_mov_b32 s7, 0
	s_lshl_b64 s[8:9], s[6:7], 1
	v_mul_u32_u24_e32 v9, 7, v0
	s_waitcnt lgkmcnt(0)
	s_add_u32 s0, s0, s8
	s_addc_u32 s1, s1, s9
	v_lshlrev_b32_e32 v5, 1, v9
	global_load_dwordx3 v[1:3], v5, s[0:1]
	global_load_ushort v4, v5, s[0:1] offset:12
	s_movk_i32 s8, 0x700
	v_or_b32_e32 v7, 0x400, v0
	v_mov_b32_e32 v6, 0
	v_lshlrev_b32_e32 v5, 2, v0
	v_cmp_gt_u32_e32 vcc, s8, v7
	ds_write2st64_b32 v5, v6, v6 offset1:4
	ds_write2st64_b32 v5, v6, v6 offset0:8 offset1:12
	ds_write_b32 v5, v6 offset:4096
	s_and_saveexec_b64 s[0:1], vcc
	s_cbranch_execz .LBB37_4
; %bb.1:
	s_movk_i32 s9, 0x200
	v_cmp_gt_u32_e32 vcc, s9, v0
	ds_write_b32 v5, v6 offset:5120
	s_and_b64 exec, exec, vcc
	s_cbranch_execz .LBB37_4
; %bb.2:
	s_movk_i32 s9, 0x100
	v_mov_b32_e32 v6, 0
	v_cmp_gt_u32_e32 vcc, s9, v0
	ds_write_b32 v5, v6 offset:6144
	s_and_b64 exec, exec, vcc
; %bb.3:
	ds_write_b32 v5, v6 offset:7168
.LBB37_4:
	s_or_b64 exec, exec, s[0:1]
	s_load_dwordx2 s[0:1], s[4:5], 0x10
	v_lshlrev_b32_e32 v24, 5, v0
	s_waitcnt lgkmcnt(0)
	s_and_b32 s1, s1, 31
	s_cmp_eq_u32 s1, 0
	s_cselect_b64 s[4:5], -1, 0
	s_and_b32 s0, s0, 31
	s_add_i32 s0, s0, s1
	s_sub_i32 s0, 32, s0
	s_sub_i32 s9, 32, s1
	s_waitcnt vmcnt(1)
	v_lshlrev_b32_sdwa v5, s0, v1 dst_sel:DWORD dst_unused:UNUSED_PAD src0_sel:DWORD src1_sel:WORD_0
	v_bfe_u32 v5, v5, s9, 16
	v_cndmask_b32_e64 v5, v5, 0, s[4:5]
	v_lshlrev_b32_e32 v6, 8, v5
	v_lshrrev_b32_e32 v5, 2, v5
	v_and_or_b32 v6, v6, s8, v0
	v_and_b32_e32 v5, 0x3ffe, v5
	v_lshl_add_u32 v11, v6, 2, v5
	ds_read_u16 v10, v11
	v_lshlrev_b32_sdwa v1, s0, v1 dst_sel:DWORD dst_unused:UNUSED_PAD src0_sel:DWORD src1_sel:WORD_1
	v_bfe_u32 v1, v1, s9, 16
	v_cndmask_b32_e64 v1, v1, 0, s[4:5]
	v_lshlrev_b32_e32 v5, 8, v1
	v_lshrrev_b32_e32 v1, 2, v1
	s_waitcnt lgkmcnt(0)
	v_add_u16_e32 v6, 1, v10
	v_and_or_b32 v5, v5, s8, v0
	v_and_b32_e32 v1, 0x3ffe, v1
	ds_write_b16 v11, v6
	v_lshl_add_u32 v14, v5, 2, v1
	ds_read_u16 v12, v14
	s_waitcnt lgkmcnt(0)
	v_add_u16_e32 v1, 1, v12
	ds_write_b16 v14, v1
	v_lshlrev_b32_sdwa v1, s0, v2 dst_sel:DWORD dst_unused:UNUSED_PAD src0_sel:DWORD src1_sel:WORD_0
	v_bfe_u32 v1, v1, s9, 16
	v_cndmask_b32_e64 v1, v1, 0, s[4:5]
	v_lshlrev_b32_e32 v5, 8, v1
	v_lshrrev_b32_e32 v1, 2, v1
	v_and_or_b32 v5, v5, s8, v0
	v_and_b32_e32 v1, 0x3ffe, v1
	v_lshl_add_u32 v15, v5, 2, v1
	ds_read_u16 v13, v15
	s_waitcnt lgkmcnt(0)
	v_add_u16_e32 v1, 1, v13
	ds_write_b16 v15, v1
	v_lshlrev_b32_sdwa v1, s0, v2 dst_sel:DWORD dst_unused:UNUSED_PAD src0_sel:DWORD src1_sel:WORD_1
	v_bfe_u32 v1, v1, s9, 16
	v_cndmask_b32_e64 v1, v1, 0, s[4:5]
	v_lshlrev_b32_e32 v2, 8, v1
	v_lshrrev_b32_e32 v1, 2, v1
	v_and_or_b32 v2, v2, s8, v0
	v_and_b32_e32 v1, 0x3ffe, v1
	v_lshl_add_u32 v17, v2, 2, v1
	ds_read_u16 v16, v17
	s_waitcnt lgkmcnt(0)
	v_add_u16_e32 v1, 1, v16
	ds_write_b16 v17, v1
	v_lshlrev_b32_sdwa v1, s0, v3 dst_sel:DWORD dst_unused:UNUSED_PAD src0_sel:DWORD src1_sel:WORD_0
	v_bfe_u32 v1, v1, s9, 16
	v_cndmask_b32_e64 v1, v1, 0, s[4:5]
	v_lshlrev_b32_e32 v2, 8, v1
	v_lshrrev_b32_e32 v1, 2, v1
	v_and_or_b32 v2, v2, s8, v0
	v_and_b32_e32 v1, 0x3ffe, v1
	v_lshl_add_u32 v19, v2, 2, v1
	ds_read_u16 v18, v19
	s_waitcnt lgkmcnt(0)
	v_add_u16_e32 v1, 1, v18
	ds_write_b16 v19, v1
	v_lshlrev_b32_sdwa v1, s0, v3 dst_sel:DWORD dst_unused:UNUSED_PAD src0_sel:DWORD src1_sel:WORD_1
	v_bfe_u32 v1, v1, s9, 16
	v_cndmask_b32_e64 v1, v1, 0, s[4:5]
	v_lshlrev_b32_e32 v2, 8, v1
	v_lshrrev_b32_e32 v1, 2, v1
	v_and_or_b32 v2, v2, s8, v0
	v_and_b32_e32 v1, 0x3ffe, v1
	v_lshl_add_u32 v21, v2, 2, v1
	ds_read_u16 v20, v21
	s_waitcnt lgkmcnt(0)
	v_add_u16_e32 v1, 1, v20
	ds_write_b16 v21, v1
	s_waitcnt vmcnt(0)
	v_lshlrev_b32_sdwa v1, s0, v4 dst_sel:DWORD dst_unused:UNUSED_PAD src0_sel:DWORD src1_sel:WORD_0
	v_bfe_u32 v1, v1, s9, 16
	v_cndmask_b32_e64 v1, v1, 0, s[4:5]
	v_lshlrev_b32_e32 v2, 8, v1
	v_lshrrev_b32_e32 v1, 2, v1
	v_and_or_b32 v2, v2, s8, v0
	v_and_b32_e32 v1, 0x3ffe, v1
	v_lshl_add_u32 v23, v2, 2, v1
	ds_read_u16 v22, v23
	s_waitcnt lgkmcnt(0)
	v_add_u16_e32 v1, 1, v22
	ds_write_b16 v23, v1
	s_waitcnt lgkmcnt(0)
	s_barrier
	ds_read_b128 v[5:8], v24
	ds_read_b128 v[1:4], v24 offset:16
	s_waitcnt lgkmcnt(1)
	v_add_u32_e32 v25, v6, v5
	v_add3_u32 v25, v25, v7, v8
	s_waitcnt lgkmcnt(0)
	v_add3_u32 v25, v25, v1, v2
	v_add3_u32 v25, v25, v3, v4
	v_mbcnt_lo_u32_b32 v4, -1, 0
	v_mbcnt_hi_u32_b32 v4, -1, v4
	v_and_b32_e32 v26, 15, v4
	v_mov_b32_dpp v27, v25 row_shr:1 row_mask:0xf bank_mask:0xf
	v_cmp_ne_u32_e32 vcc, 0, v26
	v_cndmask_b32_e32 v27, 0, v27, vcc
	v_add_u32_e32 v25, v27, v25
	v_cmp_lt_u32_e32 vcc, 1, v26
	s_nop 0
	v_mov_b32_dpp v27, v25 row_shr:2 row_mask:0xf bank_mask:0xf
	v_cndmask_b32_e32 v27, 0, v27, vcc
	v_add_u32_e32 v25, v25, v27
	v_cmp_lt_u32_e32 vcc, 3, v26
	s_nop 0
	v_mov_b32_dpp v27, v25 row_shr:4 row_mask:0xf bank_mask:0xf
	;; [unrolled: 5-line block ×3, first 2 shown]
	v_cndmask_b32_e32 v26, 0, v27, vcc
	v_add_u32_e32 v25, v25, v26
	v_bfe_i32 v27, v4, 4, 1
	v_cmp_lt_u32_e32 vcc, 31, v4
	v_mov_b32_dpp v26, v25 row_bcast:15 row_mask:0xf bank_mask:0xf
	v_and_b32_e32 v26, v27, v26
	v_add_u32_e32 v25, v25, v26
	v_or_b32_e32 v27, 63, v0
	s_nop 0
	v_mov_b32_dpp v26, v25 row_bcast:31 row_mask:0xf bank_mask:0xf
	v_cndmask_b32_e32 v26, 0, v26, vcc
	v_add_u32_e32 v25, v25, v26
	v_lshrrev_b32_e32 v26, 6, v0
	v_cmp_eq_u32_e32 vcc, v0, v27
	v_lshlrev_b32_e32 v26, 2, v26
	s_and_saveexec_b64 s[0:1], vcc
; %bb.5:
	ds_write_b32 v26, v25 offset:8192
; %bb.6:
	s_or_b64 exec, exec, s[0:1]
	v_cmp_gt_u32_e32 vcc, 4, v0
	s_waitcnt lgkmcnt(0)
	s_barrier
	s_and_saveexec_b64 s[0:1], vcc
	s_cbranch_execz .LBB37_8
; %bb.7:
	s_movk_i32 s4, 0xffe4
	v_mad_i32_i24 v27, v0, s4, v24
	ds_read_b32 v28, v27 offset:8192
	v_and_b32_e32 v29, 3, v4
	v_cmp_ne_u32_e32 vcc, 0, v29
	s_waitcnt lgkmcnt(0)
	v_mov_b32_dpp v30, v28 row_shr:1 row_mask:0xf bank_mask:0xf
	v_cndmask_b32_e32 v30, 0, v30, vcc
	v_add_u32_e32 v28, v30, v28
	v_cmp_lt_u32_e32 vcc, 1, v29
	s_nop 0
	v_mov_b32_dpp v30, v28 row_shr:2 row_mask:0xf bank_mask:0xf
	v_cndmask_b32_e32 v29, 0, v30, vcc
	v_add_u32_e32 v28, v28, v29
	ds_write_b32 v27, v28 offset:8192
.LBB37_8:
	s_or_b64 exec, exec, s[0:1]
	v_cmp_lt_u32_e32 vcc, 63, v0
	v_mov_b32_e32 v0, 0
	v_mov_b32_e32 v27, 0
	s_waitcnt lgkmcnt(0)
	s_barrier
	s_and_saveexec_b64 s[0:1], vcc
; %bb.9:
	ds_read_b32 v27, v26 offset:8188
; %bb.10:
	s_or_b64 exec, exec, s[0:1]
	v_subrev_co_u32_e32 v26, vcc, 1, v4
	v_and_b32_e32 v28, 64, v4
	v_cmp_lt_i32_e64 s[0:1], v26, v28
	v_cndmask_b32_e64 v4, v26, v4, s[0:1]
	s_waitcnt lgkmcnt(0)
	v_add_u32_e32 v25, v27, v25
	v_lshlrev_b32_e32 v4, 2, v4
	ds_bpermute_b32 v4, v4, v25
	ds_read_b32 v0, v0 offset:8204
	s_lshl_b64 s[0:1], s[6:7], 2
	s_add_u32 s0, s2, s0
	s_addc_u32 s1, s3, s1
	s_waitcnt lgkmcnt(1)
	v_cndmask_b32_e32 v4, v4, v27, vcc
	s_waitcnt lgkmcnt(0)
	v_lshl_add_u32 v4, v0, 16, v4
	v_add_u32_e32 v5, v4, v5
	v_add_u32_e32 v6, v5, v6
	;; [unrolled: 1-line block ×7, first 2 shown]
	ds_write_b128 v24, v[4:7]
	ds_write_b128 v24, v[0:3] offset:16
	s_waitcnt lgkmcnt(0)
	s_barrier
	ds_read_u16 v0, v11
	ds_read_u16 v1, v14
	;; [unrolled: 1-line block ×7, first 2 shown]
	s_waitcnt lgkmcnt(6)
	v_add_u32_sdwa v0, v0, v10 dst_sel:DWORD dst_unused:UNUSED_PAD src0_sel:DWORD src1_sel:WORD_0
	s_waitcnt lgkmcnt(5)
	v_add_u32_sdwa v1, v1, v12 dst_sel:DWORD dst_unused:UNUSED_PAD src0_sel:DWORD src1_sel:WORD_0
	;; [unrolled: 2-line block ×4, first 2 shown]
	v_lshlrev_b32_e32 v7, 2, v9
	s_waitcnt lgkmcnt(2)
	v_add_u32_sdwa v4, v4, v18 dst_sel:DWORD dst_unused:UNUSED_PAD src0_sel:DWORD src1_sel:WORD_0
	s_waitcnt lgkmcnt(1)
	v_add_u32_sdwa v5, v5, v20 dst_sel:DWORD dst_unused:UNUSED_PAD src0_sel:DWORD src1_sel:WORD_0
	;; [unrolled: 2-line block ×3, first 2 shown]
	global_store_dwordx4 v7, v[0:3], s[0:1]
	global_store_dwordx3 v7, v[4:6], s[0:1] offset:16
	s_endpgm
	.section	.rodata,"a",@progbits
	.p2align	6, 0x0
	.amdhsa_kernel _Z11rank_kernelILj256ELj7ELj4ELb0EL18RadixRankAlgorithm1EtEvPKT4_Pijj
		.amdhsa_group_segment_fixed_size 8208
		.amdhsa_private_segment_fixed_size 0
		.amdhsa_kernarg_size 24
		.amdhsa_user_sgpr_count 6
		.amdhsa_user_sgpr_private_segment_buffer 1
		.amdhsa_user_sgpr_dispatch_ptr 0
		.amdhsa_user_sgpr_queue_ptr 0
		.amdhsa_user_sgpr_kernarg_segment_ptr 1
		.amdhsa_user_sgpr_dispatch_id 0
		.amdhsa_user_sgpr_flat_scratch_init 0
		.amdhsa_user_sgpr_private_segment_size 0
		.amdhsa_uses_dynamic_stack 0
		.amdhsa_system_sgpr_private_segment_wavefront_offset 0
		.amdhsa_system_sgpr_workgroup_id_x 1
		.amdhsa_system_sgpr_workgroup_id_y 0
		.amdhsa_system_sgpr_workgroup_id_z 0
		.amdhsa_system_sgpr_workgroup_info 0
		.amdhsa_system_vgpr_workitem_id 0
		.amdhsa_next_free_vgpr 33
		.amdhsa_next_free_sgpr 77
		.amdhsa_reserve_vcc 1
		.amdhsa_reserve_flat_scratch 0
		.amdhsa_float_round_mode_32 0
		.amdhsa_float_round_mode_16_64 0
		.amdhsa_float_denorm_mode_32 3
		.amdhsa_float_denorm_mode_16_64 3
		.amdhsa_dx10_clamp 1
		.amdhsa_ieee_mode 1
		.amdhsa_fp16_overflow 0
		.amdhsa_exception_fp_ieee_invalid_op 0
		.amdhsa_exception_fp_denorm_src 0
		.amdhsa_exception_fp_ieee_div_zero 0
		.amdhsa_exception_fp_ieee_overflow 0
		.amdhsa_exception_fp_ieee_underflow 0
		.amdhsa_exception_fp_ieee_inexact 0
		.amdhsa_exception_int_div_zero 0
	.end_amdhsa_kernel
	.section	.text._Z11rank_kernelILj256ELj7ELj4ELb0EL18RadixRankAlgorithm1EtEvPKT4_Pijj,"axG",@progbits,_Z11rank_kernelILj256ELj7ELj4ELb0EL18RadixRankAlgorithm1EtEvPKT4_Pijj,comdat
.Lfunc_end37:
	.size	_Z11rank_kernelILj256ELj7ELj4ELb0EL18RadixRankAlgorithm1EtEvPKT4_Pijj, .Lfunc_end37-_Z11rank_kernelILj256ELj7ELj4ELb0EL18RadixRankAlgorithm1EtEvPKT4_Pijj
                                        ; -- End function
	.set _Z11rank_kernelILj256ELj7ELj4ELb0EL18RadixRankAlgorithm1EtEvPKT4_Pijj.num_vgpr, 31
	.set _Z11rank_kernelILj256ELj7ELj4ELb0EL18RadixRankAlgorithm1EtEvPKT4_Pijj.num_agpr, 0
	.set _Z11rank_kernelILj256ELj7ELj4ELb0EL18RadixRankAlgorithm1EtEvPKT4_Pijj.numbered_sgpr, 10
	.set _Z11rank_kernelILj256ELj7ELj4ELb0EL18RadixRankAlgorithm1EtEvPKT4_Pijj.num_named_barrier, 0
	.set _Z11rank_kernelILj256ELj7ELj4ELb0EL18RadixRankAlgorithm1EtEvPKT4_Pijj.private_seg_size, 0
	.set _Z11rank_kernelILj256ELj7ELj4ELb0EL18RadixRankAlgorithm1EtEvPKT4_Pijj.uses_vcc, 1
	.set _Z11rank_kernelILj256ELj7ELj4ELb0EL18RadixRankAlgorithm1EtEvPKT4_Pijj.uses_flat_scratch, 0
	.set _Z11rank_kernelILj256ELj7ELj4ELb0EL18RadixRankAlgorithm1EtEvPKT4_Pijj.has_dyn_sized_stack, 0
	.set _Z11rank_kernelILj256ELj7ELj4ELb0EL18RadixRankAlgorithm1EtEvPKT4_Pijj.has_recursion, 0
	.set _Z11rank_kernelILj256ELj7ELj4ELb0EL18RadixRankAlgorithm1EtEvPKT4_Pijj.has_indirect_call, 0
	.section	.AMDGPU.csdata,"",@progbits
; Kernel info:
; codeLenInByte = 1476
; TotalNumSgprs: 14
; NumVgprs: 31
; ScratchSize: 0
; MemoryBound: 0
; FloatMode: 240
; IeeeMode: 1
; LDSByteSize: 8208 bytes/workgroup (compile time only)
; SGPRBlocks: 10
; VGPRBlocks: 8
; NumSGPRsForWavesPerEU: 81
; NumVGPRsForWavesPerEU: 33
; Occupancy: 7
; WaveLimiterHint : 0
; COMPUTE_PGM_RSRC2:SCRATCH_EN: 0
; COMPUTE_PGM_RSRC2:USER_SGPR: 6
; COMPUTE_PGM_RSRC2:TRAP_HANDLER: 0
; COMPUTE_PGM_RSRC2:TGID_X_EN: 1
; COMPUTE_PGM_RSRC2:TGID_Y_EN: 0
; COMPUTE_PGM_RSRC2:TGID_Z_EN: 0
; COMPUTE_PGM_RSRC2:TIDIG_COMP_CNT: 0
	.section	.text._Z11rank_kernelILj128ELj4ELj4ELb0EL18RadixRankAlgorithm1EiEvPKT4_Pijj,"axG",@progbits,_Z11rank_kernelILj128ELj4ELj4ELb0EL18RadixRankAlgorithm1EiEvPKT4_Pijj,comdat
	.protected	_Z11rank_kernelILj128ELj4ELj4ELb0EL18RadixRankAlgorithm1EiEvPKT4_Pijj ; -- Begin function _Z11rank_kernelILj128ELj4ELj4ELb0EL18RadixRankAlgorithm1EiEvPKT4_Pijj
	.globl	_Z11rank_kernelILj128ELj4ELj4ELb0EL18RadixRankAlgorithm1EiEvPKT4_Pijj
	.p2align	8
	.type	_Z11rank_kernelILj128ELj4ELj4ELb0EL18RadixRankAlgorithm1EiEvPKT4_Pijj,@function
_Z11rank_kernelILj128ELj4ELj4ELb0EL18RadixRankAlgorithm1EiEvPKT4_Pijj: ; @_Z11rank_kernelILj128ELj4ELj4ELb0EL18RadixRankAlgorithm1EiEvPKT4_Pijj
; %bb.0:
	s_load_dwordx4 s[0:3], s[4:5], 0x0
	s_lshl_b32 s6, s6, 9
	s_mov_b32 s7, 0
	s_lshl_b64 s[6:7], s[6:7], 2
	v_lshlrev_b32_e32 v1, 4, v0
	s_waitcnt lgkmcnt(0)
	s_add_u32 s0, s0, s6
	s_addc_u32 s1, s1, s7
	global_load_dwordx4 v[1:4], v1, s[0:1]
	s_movk_i32 s8, 0x380
	v_lshlrev_b32_e32 v9, 2, v0
	v_mov_b32_e32 v5, 0
	v_cmp_gt_u32_e32 vcc, s8, v0
	ds_write_b32 v9, v5
	s_and_saveexec_b64 s[0:1], vcc
	s_cbranch_execz .LBB38_8
; %bb.1:
	s_movk_i32 s9, 0x300
	v_cmp_gt_u32_e32 vcc, s9, v0
	ds_write_b32 v9, v5 offset:512
	s_and_b64 exec, exec, vcc
	s_cbranch_execz .LBB38_8
; %bb.2:
	s_movk_i32 s9, 0x280
	v_mov_b32_e32 v5, 0
	v_cmp_gt_u32_e32 vcc, s9, v0
	ds_write_b32 v9, v5 offset:1024
	s_and_b64 exec, exec, vcc
	s_cbranch_execz .LBB38_8
; %bb.3:
	s_movk_i32 s9, 0x200
	v_cmp_gt_u32_e32 vcc, s9, v0
	ds_write_b32 v9, v5 offset:1536
	s_and_b64 exec, exec, vcc
	s_cbranch_execz .LBB38_8
; %bb.4:
	s_movk_i32 s9, 0x180
	v_mov_b32_e32 v5, 0
	v_cmp_gt_u32_e32 vcc, s9, v0
	ds_write_b32 v9, v5 offset:2048
	s_and_b64 exec, exec, vcc
	;; [unrolled: 13-line block ×3, first 2 shown]
; %bb.7:
	ds_write_b32 v9, v5 offset:3584
.LBB38_8:
	s_or_b64 exec, exec, s[0:1]
	s_load_dwordx2 s[0:1], s[4:5], 0x10
	s_waitcnt vmcnt(0)
	v_xor_b32_e32 v1, 0x80000000, v1
	v_mad_u32_u24 v18, v0, 28, v9
	s_waitcnt lgkmcnt(0)
	s_and_b32 s1, s1, 31
	s_cmp_eq_u32 s1, 0
	s_cselect_b64 s[4:5], -1, 0
	s_and_b32 s0, s0, 31
	s_add_i32 s0, s0, s1
	s_sub_i32 s0, 32, s0
	s_sub_i32 s9, 32, s1
	v_lshlrev_b32_e32 v1, s0, v1
	v_lshrrev_b32_e32 v1, s9, v1
	v_cndmask_b32_e64 v1, v1, 0, s[4:5]
	v_lshlrev_b32_e32 v5, 7, v1
	v_lshrrev_b32_e32 v1, 2, v1
	v_and_or_b32 v5, v5, s8, v0
	v_and_b32_e32 v1, 0x3ffffffe, v1
	v_lshl_add_u32 v11, v5, 2, v1
	ds_read_u16 v10, v11
	v_xor_b32_e32 v1, 0x80000000, v2
	v_lshlrev_b32_e32 v1, s0, v1
	v_lshrrev_b32_e32 v1, s9, v1
	v_cndmask_b32_e64 v1, v1, 0, s[4:5]
	s_waitcnt lgkmcnt(0)
	v_add_u16_e32 v2, 1, v10
	ds_write_b16 v11, v2
	v_lshlrev_b32_e32 v2, 7, v1
	v_lshrrev_b32_e32 v1, 2, v1
	v_and_or_b32 v2, v2, s8, v0
	v_and_b32_e32 v1, 0x3ffffffe, v1
	v_lshl_add_u32 v13, v2, 2, v1
	ds_read_u16 v12, v13
	v_xor_b32_e32 v1, 0x80000000, v3
	v_lshlrev_b32_e32 v1, s0, v1
	v_lshrrev_b32_e32 v1, s9, v1
	v_cndmask_b32_e64 v1, v1, 0, s[4:5]
	s_waitcnt lgkmcnt(0)
	v_add_u16_e32 v2, 1, v12
	ds_write_b16 v13, v2
	;; [unrolled: 13-line block ×3, first 2 shown]
	v_lshlrev_b32_e32 v2, 7, v1
	v_lshrrev_b32_e32 v1, 2, v1
	v_and_or_b32 v2, v2, s8, v0
	v_and_b32_e32 v1, 0x3ffffffe, v1
	v_lshl_add_u32 v17, v2, 2, v1
	ds_read_u16 v16, v17
	s_waitcnt lgkmcnt(0)
	v_add_u16_e32 v1, 1, v16
	ds_write_b16 v17, v1
	s_waitcnt lgkmcnt(0)
	s_barrier
	ds_read_b128 v[5:8], v18
	ds_read_b128 v[1:4], v18 offset:16
	s_waitcnt lgkmcnt(1)
	v_add_u32_e32 v19, v6, v5
	v_add3_u32 v19, v19, v7, v8
	s_waitcnt lgkmcnt(0)
	v_add3_u32 v19, v19, v1, v2
	v_add3_u32 v19, v19, v3, v4
	v_mbcnt_lo_u32_b32 v4, -1, 0
	v_mbcnt_hi_u32_b32 v4, -1, v4
	v_and_b32_e32 v20, 15, v4
	v_mov_b32_dpp v21, v19 row_shr:1 row_mask:0xf bank_mask:0xf
	v_cmp_ne_u32_e32 vcc, 0, v20
	v_cndmask_b32_e32 v21, 0, v21, vcc
	v_add_u32_e32 v19, v21, v19
	v_cmp_lt_u32_e32 vcc, 1, v20
	s_nop 0
	v_mov_b32_dpp v21, v19 row_shr:2 row_mask:0xf bank_mask:0xf
	v_cndmask_b32_e32 v21, 0, v21, vcc
	v_add_u32_e32 v19, v19, v21
	v_cmp_lt_u32_e32 vcc, 3, v20
	s_nop 0
	v_mov_b32_dpp v21, v19 row_shr:4 row_mask:0xf bank_mask:0xf
	;; [unrolled: 5-line block ×3, first 2 shown]
	v_cndmask_b32_e32 v20, 0, v21, vcc
	v_add_u32_e32 v19, v19, v20
	v_bfe_i32 v21, v4, 4, 1
	v_cmp_lt_u32_e32 vcc, 31, v4
	v_mov_b32_dpp v20, v19 row_bcast:15 row_mask:0xf bank_mask:0xf
	v_and_b32_e32 v20, v21, v20
	v_add_u32_e32 v19, v19, v20
	v_or_b32_e32 v21, 63, v0
	s_nop 0
	v_mov_b32_dpp v20, v19 row_bcast:31 row_mask:0xf bank_mask:0xf
	v_cndmask_b32_e32 v20, 0, v20, vcc
	v_add_u32_e32 v19, v19, v20
	v_lshrrev_b32_e32 v20, 6, v0
	v_cmp_eq_u32_e32 vcc, v0, v21
	v_lshlrev_b32_e32 v20, 2, v20
	s_and_saveexec_b64 s[0:1], vcc
; %bb.9:
	ds_write_b32 v20, v19 offset:4096
; %bb.10:
	s_or_b64 exec, exec, s[0:1]
	v_cmp_gt_u32_e32 vcc, 2, v0
	s_waitcnt lgkmcnt(0)
	s_barrier
	s_and_saveexec_b64 s[0:1], vcc
	s_cbranch_execz .LBB38_12
; %bb.11:
	s_movk_i32 s4, 0xffe4
	v_mad_i32_i24 v21, v0, s4, v18
	ds_read_b32 v22, v21 offset:4096
	v_bfe_i32 v23, v4, 0, 1
	s_waitcnt lgkmcnt(0)
	v_mov_b32_dpp v24, v22 row_shr:1 row_mask:0xf bank_mask:0xf
	v_and_b32_e32 v23, v23, v24
	v_add_u32_e32 v22, v23, v22
	ds_write_b32 v21, v22 offset:4096
.LBB38_12:
	s_or_b64 exec, exec, s[0:1]
	v_cmp_lt_u32_e32 vcc, 63, v0
	v_mov_b32_e32 v0, 0
	v_mov_b32_e32 v21, 0
	s_waitcnt lgkmcnt(0)
	s_barrier
	s_and_saveexec_b64 s[0:1], vcc
; %bb.13:
	ds_read_b32 v21, v20 offset:4092
; %bb.14:
	s_or_b64 exec, exec, s[0:1]
	v_subrev_co_u32_e32 v20, vcc, 1, v4
	v_and_b32_e32 v22, 64, v4
	v_cmp_lt_i32_e64 s[0:1], v20, v22
	v_cndmask_b32_e64 v4, v20, v4, s[0:1]
	s_waitcnt lgkmcnt(0)
	v_add_u32_e32 v19, v21, v19
	v_lshlrev_b32_e32 v4, 2, v4
	ds_bpermute_b32 v4, v4, v19
	ds_read_b32 v0, v0 offset:4100
	s_add_u32 s0, s2, s6
	s_addc_u32 s1, s3, s7
	s_waitcnt lgkmcnt(1)
	v_cndmask_b32_e32 v4, v4, v21, vcc
	s_waitcnt lgkmcnt(0)
	v_lshl_add_u32 v4, v0, 16, v4
	v_add_u32_e32 v5, v4, v5
	v_add_u32_e32 v6, v5, v6
	;; [unrolled: 1-line block ×7, first 2 shown]
	ds_write_b128 v18, v[4:7]
	ds_write_b128 v18, v[0:3] offset:16
	s_waitcnt lgkmcnt(0)
	s_barrier
	ds_read_u16 v0, v11
	ds_read_u16 v1, v13
	;; [unrolled: 1-line block ×4, first 2 shown]
	v_lshlrev_b32_e32 v4, 2, v9
	s_waitcnt lgkmcnt(3)
	v_add_u32_sdwa v0, v0, v10 dst_sel:DWORD dst_unused:UNUSED_PAD src0_sel:DWORD src1_sel:WORD_0
	s_waitcnt lgkmcnt(2)
	v_add_u32_sdwa v1, v1, v12 dst_sel:DWORD dst_unused:UNUSED_PAD src0_sel:DWORD src1_sel:WORD_0
	;; [unrolled: 2-line block ×4, first 2 shown]
	global_store_dwordx4 v4, v[0:3], s[0:1]
	s_endpgm
	.section	.rodata,"a",@progbits
	.p2align	6, 0x0
	.amdhsa_kernel _Z11rank_kernelILj128ELj4ELj4ELb0EL18RadixRankAlgorithm1EiEvPKT4_Pijj
		.amdhsa_group_segment_fixed_size 4112
		.amdhsa_private_segment_fixed_size 0
		.amdhsa_kernarg_size 24
		.amdhsa_user_sgpr_count 6
		.amdhsa_user_sgpr_private_segment_buffer 1
		.amdhsa_user_sgpr_dispatch_ptr 0
		.amdhsa_user_sgpr_queue_ptr 0
		.amdhsa_user_sgpr_kernarg_segment_ptr 1
		.amdhsa_user_sgpr_dispatch_id 0
		.amdhsa_user_sgpr_flat_scratch_init 0
		.amdhsa_user_sgpr_private_segment_size 0
		.amdhsa_uses_dynamic_stack 0
		.amdhsa_system_sgpr_private_segment_wavefront_offset 0
		.amdhsa_system_sgpr_workgroup_id_x 1
		.amdhsa_system_sgpr_workgroup_id_y 0
		.amdhsa_system_sgpr_workgroup_id_z 0
		.amdhsa_system_sgpr_workgroup_info 0
		.amdhsa_system_vgpr_workitem_id 0
		.amdhsa_next_free_vgpr 29
		.amdhsa_next_free_sgpr 61
		.amdhsa_reserve_vcc 1
		.amdhsa_reserve_flat_scratch 0
		.amdhsa_float_round_mode_32 0
		.amdhsa_float_round_mode_16_64 0
		.amdhsa_float_denorm_mode_32 3
		.amdhsa_float_denorm_mode_16_64 3
		.amdhsa_dx10_clamp 1
		.amdhsa_ieee_mode 1
		.amdhsa_fp16_overflow 0
		.amdhsa_exception_fp_ieee_invalid_op 0
		.amdhsa_exception_fp_denorm_src 0
		.amdhsa_exception_fp_ieee_div_zero 0
		.amdhsa_exception_fp_ieee_overflow 0
		.amdhsa_exception_fp_ieee_underflow 0
		.amdhsa_exception_fp_ieee_inexact 0
		.amdhsa_exception_int_div_zero 0
	.end_amdhsa_kernel
	.section	.text._Z11rank_kernelILj128ELj4ELj4ELb0EL18RadixRankAlgorithm1EiEvPKT4_Pijj,"axG",@progbits,_Z11rank_kernelILj128ELj4ELj4ELb0EL18RadixRankAlgorithm1EiEvPKT4_Pijj,comdat
.Lfunc_end38:
	.size	_Z11rank_kernelILj128ELj4ELj4ELb0EL18RadixRankAlgorithm1EiEvPKT4_Pijj, .Lfunc_end38-_Z11rank_kernelILj128ELj4ELj4ELb0EL18RadixRankAlgorithm1EiEvPKT4_Pijj
                                        ; -- End function
	.set _Z11rank_kernelILj128ELj4ELj4ELb0EL18RadixRankAlgorithm1EiEvPKT4_Pijj.num_vgpr, 25
	.set _Z11rank_kernelILj128ELj4ELj4ELb0EL18RadixRankAlgorithm1EiEvPKT4_Pijj.num_agpr, 0
	.set _Z11rank_kernelILj128ELj4ELj4ELb0EL18RadixRankAlgorithm1EiEvPKT4_Pijj.numbered_sgpr, 10
	.set _Z11rank_kernelILj128ELj4ELj4ELb0EL18RadixRankAlgorithm1EiEvPKT4_Pijj.num_named_barrier, 0
	.set _Z11rank_kernelILj128ELj4ELj4ELb0EL18RadixRankAlgorithm1EiEvPKT4_Pijj.private_seg_size, 0
	.set _Z11rank_kernelILj128ELj4ELj4ELb0EL18RadixRankAlgorithm1EiEvPKT4_Pijj.uses_vcc, 1
	.set _Z11rank_kernelILj128ELj4ELj4ELb0EL18RadixRankAlgorithm1EiEvPKT4_Pijj.uses_flat_scratch, 0
	.set _Z11rank_kernelILj128ELj4ELj4ELb0EL18RadixRankAlgorithm1EiEvPKT4_Pijj.has_dyn_sized_stack, 0
	.set _Z11rank_kernelILj128ELj4ELj4ELb0EL18RadixRankAlgorithm1EiEvPKT4_Pijj.has_recursion, 0
	.set _Z11rank_kernelILj128ELj4ELj4ELb0EL18RadixRankAlgorithm1EiEvPKT4_Pijj.has_indirect_call, 0
	.section	.AMDGPU.csdata,"",@progbits
; Kernel info:
; codeLenInByte = 1208
; TotalNumSgprs: 14
; NumVgprs: 25
; ScratchSize: 0
; MemoryBound: 0
; FloatMode: 240
; IeeeMode: 1
; LDSByteSize: 4112 bytes/workgroup (compile time only)
; SGPRBlocks: 8
; VGPRBlocks: 7
; NumSGPRsForWavesPerEU: 65
; NumVGPRsForWavesPerEU: 29
; Occupancy: 8
; WaveLimiterHint : 0
; COMPUTE_PGM_RSRC2:SCRATCH_EN: 0
; COMPUTE_PGM_RSRC2:USER_SGPR: 6
; COMPUTE_PGM_RSRC2:TRAP_HANDLER: 0
; COMPUTE_PGM_RSRC2:TGID_X_EN: 1
; COMPUTE_PGM_RSRC2:TGID_Y_EN: 0
; COMPUTE_PGM_RSRC2:TGID_Z_EN: 0
; COMPUTE_PGM_RSRC2:TIDIG_COMP_CNT: 0
	.section	.text._Z11rank_kernelILj64ELj2ELj4ELb1EL18RadixRankAlgorithm1EyEvPKT4_Pijj,"axG",@progbits,_Z11rank_kernelILj64ELj2ELj4ELb1EL18RadixRankAlgorithm1EyEvPKT4_Pijj,comdat
	.protected	_Z11rank_kernelILj64ELj2ELj4ELb1EL18RadixRankAlgorithm1EyEvPKT4_Pijj ; -- Begin function _Z11rank_kernelILj64ELj2ELj4ELb1EL18RadixRankAlgorithm1EyEvPKT4_Pijj
	.globl	_Z11rank_kernelILj64ELj2ELj4ELb1EL18RadixRankAlgorithm1EyEvPKT4_Pijj
	.p2align	8
	.type	_Z11rank_kernelILj64ELj2ELj4ELb1EL18RadixRankAlgorithm1EyEvPKT4_Pijj,@function
_Z11rank_kernelILj64ELj2ELj4ELb1EL18RadixRankAlgorithm1EyEvPKT4_Pijj: ; @_Z11rank_kernelILj64ELj2ELj4ELb1EL18RadixRankAlgorithm1EyEvPKT4_Pijj
; %bb.0:
	s_load_dwordx4 s[0:3], s[4:5], 0x0
	s_lshl_b32 s6, s6, 7
	s_mov_b32 s7, 0
	s_lshl_b64 s[8:9], s[6:7], 3
	v_lshlrev_b32_e32 v1, 4, v0
	s_waitcnt lgkmcnt(0)
	s_add_u32 s0, s0, s8
	s_addc_u32 s1, s1, s9
	global_load_dwordx4 v[1:4], v1, s[0:1]
	s_movk_i32 s0, 0x200
	v_mov_b32_e32 v6, 0
	v_cmp_gt_u32_e32 vcc, s0, v0
	s_and_saveexec_b64 s[0:1], vcc
	s_cbranch_execz .LBB39_9
; %bb.1:
	s_movk_i32 s8, 0x1c0
	v_lshlrev_b32_e32 v5, 2, v0
	v_cmp_gt_u32_e32 vcc, s8, v0
	ds_write_b32 v5, v6
	s_and_b64 exec, exec, vcc
	s_cbranch_execz .LBB39_9
; %bb.2:
	s_movk_i32 s8, 0x180
	v_mov_b32_e32 v6, 0
	v_cmp_gt_u32_e32 vcc, s8, v0
	ds_write_b32 v5, v6 offset:256
	s_and_b64 exec, exec, vcc
	s_cbranch_execz .LBB39_9
; %bb.3:
	s_movk_i32 s8, 0x140
	v_cmp_gt_u32_e32 vcc, s8, v0
	ds_write_b32 v5, v6 offset:512
	s_and_b64 exec, exec, vcc
	s_cbranch_execz .LBB39_9
; %bb.4:
	s_movk_i32 s8, 0x100
	v_mov_b32_e32 v6, 0
	v_cmp_gt_u32_e32 vcc, s8, v0
	ds_write_b32 v5, v6 offset:768
	s_and_b64 exec, exec, vcc
	s_cbranch_execz .LBB39_9
; %bb.5:
	s_movk_i32 s8, 0xc0
	v_cmp_gt_u32_e32 vcc, s8, v0
	ds_write_b32 v5, v6 offset:1024
	s_and_b64 exec, exec, vcc
	s_cbranch_execz .LBB39_9
; %bb.6:
	s_movk_i32 s8, 0x80
	v_mov_b32_e32 v6, 0
	v_cmp_gt_u32_e32 vcc, s8, v0
	ds_write_b32 v5, v6 offset:1280
	s_and_b64 exec, exec, vcc
	s_cbranch_execz .LBB39_9
; %bb.7:
	v_cmp_gt_u32_e32 vcc, 64, v0
	ds_write_b32 v5, v6 offset:1536
	s_and_b64 exec, exec, vcc
; %bb.8:
	v_mov_b32_e32 v6, 0
	ds_write_b32 v5, v6 offset:1792
.LBB39_9:
	s_or_b64 exec, exec, s[0:1]
	s_load_dwordx2 s[0:1], s[4:5], 0x10
	v_mov_b32_e32 v5, 15
	v_mov_b32_e32 v6, 15
	s_waitcnt lgkmcnt(0)
	s_and_b32 s8, s1, 63
	s_cmp_lg_u32 s8, 0
	s_cselect_b64 s[4:5], -1, 0
	s_sub_u32 s1, 64, s8
	s_and_b64 vcc, exec, s[4:5]
	s_cbranch_vccz .LBB39_11
; %bb.10:
	s_and_b32 s9, s0, 63
	s_add_i32 s9, s9, s8
	s_sub_i32 s9, 64, s9
	s_waitcnt vmcnt(0)
	v_lshlrev_b64 v[1:2], s9, v[1:2]
	v_lshrrev_b64 v[1:2], s1, v[1:2]
	v_xor_b32_e32 v6, 15, v1
.LBB39_11:
	s_waitcnt vmcnt(0)
	v_lshlrev_b32_e32 v1, 6, v6
	s_movk_i32 s9, 0x1c0
	v_lshrrev_b32_e32 v2, 2, v6
	v_and_or_b32 v1, v1, s9, v0
	v_and_b32_e32 v2, 0x3ffffffe, v2
	v_lshl_add_u32 v11, v1, 2, v2
	ds_read_u16 v10, v11
	v_lshlrev_b32_e32 v9, 1, v0
	s_andn2_b64 vcc, exec, s[4:5]
	s_waitcnt lgkmcnt(0)
	v_add_u16_e32 v1, 1, v10
	ds_write_b16 v11, v1
	s_cbranch_vccnz .LBB39_13
; %bb.12:
	s_and_b32 s0, s0, 63
	s_add_i32 s0, s0, s8
	s_sub_i32 s0, 64, s0
	v_lshlrev_b64 v[1:2], s0, v[3:4]
	v_lshrrev_b64 v[1:2], s1, v[1:2]
	v_xor_b32_e32 v5, 15, v1
.LBB39_13:
	v_lshlrev_b32_e32 v1, 6, v5
	v_lshrrev_b32_e32 v2, 2, v5
	v_and_or_b32 v1, v1, s9, v0
	v_and_b32_e32 v2, 0x3ffffffe, v2
	v_lshl_add_u32 v13, v1, 2, v2
	ds_read_u16 v12, v13
	v_lshlrev_b32_e32 v14, 5, v0
	v_mbcnt_lo_u32_b32 v15, -1, 0
	s_waitcnt lgkmcnt(0)
	v_add_u16_e32 v1, 1, v12
	ds_write_b16 v13, v1
	s_waitcnt lgkmcnt(0)
	; wave barrier
	ds_read_b128 v[5:8], v14
	ds_read_b128 v[1:4], v14 offset:16
	s_waitcnt lgkmcnt(1)
	v_add_u32_e32 v16, v6, v5
	v_add3_u32 v16, v16, v7, v8
	s_waitcnt lgkmcnt(0)
	v_add3_u32 v16, v16, v1, v2
	v_add3_u32 v16, v16, v3, v4
	v_mbcnt_hi_u32_b32 v4, -1, v15
	v_and_b32_e32 v15, 15, v4
	v_mov_b32_dpp v17, v16 row_shr:1 row_mask:0xf bank_mask:0xf
	v_cmp_ne_u32_e32 vcc, 0, v15
	v_cndmask_b32_e32 v17, 0, v17, vcc
	v_add_u32_e32 v16, v17, v16
	v_cmp_lt_u32_e32 vcc, 1, v15
	s_nop 0
	v_mov_b32_dpp v17, v16 row_shr:2 row_mask:0xf bank_mask:0xf
	v_cndmask_b32_e32 v17, 0, v17, vcc
	v_add_u32_e32 v16, v16, v17
	v_cmp_lt_u32_e32 vcc, 3, v15
	s_nop 0
	v_mov_b32_dpp v17, v16 row_shr:4 row_mask:0xf bank_mask:0xf
	;; [unrolled: 5-line block ×3, first 2 shown]
	v_cndmask_b32_e32 v15, 0, v17, vcc
	v_add_u32_e32 v15, v16, v15
	v_bfe_i32 v17, v4, 4, 1
	v_cmp_lt_u32_e32 vcc, 31, v4
	v_mov_b32_dpp v16, v15 row_bcast:15 row_mask:0xf bank_mask:0xf
	v_and_b32_e32 v16, v17, v16
	v_add_u32_e32 v15, v15, v16
	s_nop 1
	v_mov_b32_dpp v16, v15 row_bcast:31 row_mask:0xf bank_mask:0xf
	v_cndmask_b32_e32 v16, 0, v16, vcc
	v_add_u32_e32 v15, v15, v16
	v_cmp_eq_u32_e32 vcc, 63, v0
	s_and_saveexec_b64 s[0:1], vcc
; %bb.14:
	v_mov_b32_e32 v0, 0
	ds_write_b32 v0, v15 offset:2048
; %bb.15:
	s_or_b64 exec, exec, s[0:1]
	v_subrev_co_u32_e32 v0, vcc, 1, v4
	v_and_b32_e32 v16, 64, v4
	v_cmp_lt_i32_e64 s[0:1], v0, v16
	v_cndmask_b32_e64 v0, v0, v4, s[0:1]
	v_lshlrev_b32_e32 v0, 2, v0
	ds_bpermute_b32 v0, v0, v15
	v_mov_b32_e32 v4, 0
	s_waitcnt lgkmcnt(0)
	; wave barrier
	ds_read_b32 v4, v4 offset:2048
	v_cndmask_b32_e64 v0, v0, 0, vcc
	s_lshl_b64 s[0:1], s[6:7], 2
	s_add_u32 s0, s2, s0
	s_addc_u32 s1, s3, s1
	s_waitcnt lgkmcnt(0)
	v_lshl_add_u32 v4, v4, 16, v0
	v_add_u32_e32 v5, v4, v5
	v_add_u32_e32 v6, v5, v6
	;; [unrolled: 1-line block ×7, first 2 shown]
	ds_write_b128 v14, v[4:7]
	ds_write_b128 v14, v[0:3] offset:16
	s_waitcnt lgkmcnt(0)
	; wave barrier
	ds_read_u16 v0, v11
	ds_read_u16 v1, v13
	v_lshlrev_b32_e32 v2, 2, v9
	s_waitcnt lgkmcnt(1)
	v_add_u32_sdwa v0, v0, v10 dst_sel:DWORD dst_unused:UNUSED_PAD src0_sel:DWORD src1_sel:WORD_0
	s_waitcnt lgkmcnt(0)
	v_add_u32_sdwa v1, v1, v12 dst_sel:DWORD dst_unused:UNUSED_PAD src0_sel:DWORD src1_sel:WORD_0
	global_store_dwordx2 v2, v[0:1], s[0:1]
	s_endpgm
	.section	.rodata,"a",@progbits
	.p2align	6, 0x0
	.amdhsa_kernel _Z11rank_kernelILj64ELj2ELj4ELb1EL18RadixRankAlgorithm1EyEvPKT4_Pijj
		.amdhsa_group_segment_fixed_size 2064
		.amdhsa_private_segment_fixed_size 0
		.amdhsa_kernarg_size 24
		.amdhsa_user_sgpr_count 6
		.amdhsa_user_sgpr_private_segment_buffer 1
		.amdhsa_user_sgpr_dispatch_ptr 0
		.amdhsa_user_sgpr_queue_ptr 0
		.amdhsa_user_sgpr_kernarg_segment_ptr 1
		.amdhsa_user_sgpr_dispatch_id 0
		.amdhsa_user_sgpr_flat_scratch_init 0
		.amdhsa_user_sgpr_private_segment_size 0
		.amdhsa_uses_dynamic_stack 0
		.amdhsa_system_sgpr_private_segment_wavefront_offset 0
		.amdhsa_system_sgpr_workgroup_id_x 1
		.amdhsa_system_sgpr_workgroup_id_y 0
		.amdhsa_system_sgpr_workgroup_id_z 0
		.amdhsa_system_sgpr_workgroup_info 0
		.amdhsa_system_vgpr_workitem_id 0
		.amdhsa_next_free_vgpr 29
		.amdhsa_next_free_sgpr 61
		.amdhsa_reserve_vcc 1
		.amdhsa_reserve_flat_scratch 0
		.amdhsa_float_round_mode_32 0
		.amdhsa_float_round_mode_16_64 0
		.amdhsa_float_denorm_mode_32 3
		.amdhsa_float_denorm_mode_16_64 3
		.amdhsa_dx10_clamp 1
		.amdhsa_ieee_mode 1
		.amdhsa_fp16_overflow 0
		.amdhsa_exception_fp_ieee_invalid_op 0
		.amdhsa_exception_fp_denorm_src 0
		.amdhsa_exception_fp_ieee_div_zero 0
		.amdhsa_exception_fp_ieee_overflow 0
		.amdhsa_exception_fp_ieee_underflow 0
		.amdhsa_exception_fp_ieee_inexact 0
		.amdhsa_exception_int_div_zero 0
	.end_amdhsa_kernel
	.section	.text._Z11rank_kernelILj64ELj2ELj4ELb1EL18RadixRankAlgorithm1EyEvPKT4_Pijj,"axG",@progbits,_Z11rank_kernelILj64ELj2ELj4ELb1EL18RadixRankAlgorithm1EyEvPKT4_Pijj,comdat
.Lfunc_end39:
	.size	_Z11rank_kernelILj64ELj2ELj4ELb1EL18RadixRankAlgorithm1EyEvPKT4_Pijj, .Lfunc_end39-_Z11rank_kernelILj64ELj2ELj4ELb1EL18RadixRankAlgorithm1EyEvPKT4_Pijj
                                        ; -- End function
	.set _Z11rank_kernelILj64ELj2ELj4ELb1EL18RadixRankAlgorithm1EyEvPKT4_Pijj.num_vgpr, 18
	.set _Z11rank_kernelILj64ELj2ELj4ELb1EL18RadixRankAlgorithm1EyEvPKT4_Pijj.num_agpr, 0
	.set _Z11rank_kernelILj64ELj2ELj4ELb1EL18RadixRankAlgorithm1EyEvPKT4_Pijj.numbered_sgpr, 10
	.set _Z11rank_kernelILj64ELj2ELj4ELb1EL18RadixRankAlgorithm1EyEvPKT4_Pijj.num_named_barrier, 0
	.set _Z11rank_kernelILj64ELj2ELj4ELb1EL18RadixRankAlgorithm1EyEvPKT4_Pijj.private_seg_size, 0
	.set _Z11rank_kernelILj64ELj2ELj4ELb1EL18RadixRankAlgorithm1EyEvPKT4_Pijj.uses_vcc, 1
	.set _Z11rank_kernelILj64ELj2ELj4ELb1EL18RadixRankAlgorithm1EyEvPKT4_Pijj.uses_flat_scratch, 0
	.set _Z11rank_kernelILj64ELj2ELj4ELb1EL18RadixRankAlgorithm1EyEvPKT4_Pijj.has_dyn_sized_stack, 0
	.set _Z11rank_kernelILj64ELj2ELj4ELb1EL18RadixRankAlgorithm1EyEvPKT4_Pijj.has_recursion, 0
	.set _Z11rank_kernelILj64ELj2ELj4ELb1EL18RadixRankAlgorithm1EyEvPKT4_Pijj.has_indirect_call, 0
	.section	.AMDGPU.csdata,"",@progbits
; Kernel info:
; codeLenInByte = 932
; TotalNumSgprs: 14
; NumVgprs: 18
; ScratchSize: 0
; MemoryBound: 0
; FloatMode: 240
; IeeeMode: 1
; LDSByteSize: 2064 bytes/workgroup (compile time only)
; SGPRBlocks: 8
; VGPRBlocks: 7
; NumSGPRsForWavesPerEU: 65
; NumVGPRsForWavesPerEU: 29
; Occupancy: 8
; WaveLimiterHint : 0
; COMPUTE_PGM_RSRC2:SCRATCH_EN: 0
; COMPUTE_PGM_RSRC2:USER_SGPR: 6
; COMPUTE_PGM_RSRC2:TRAP_HANDLER: 0
; COMPUTE_PGM_RSRC2:TGID_X_EN: 1
; COMPUTE_PGM_RSRC2:TGID_Y_EN: 0
; COMPUTE_PGM_RSRC2:TGID_Z_EN: 0
; COMPUTE_PGM_RSRC2:TIDIG_COMP_CNT: 0
	.section	.text._Z11rank_kernelILj255ELj1ELj4ELb0EL18RadixRankAlgorithm1EhEvPKT4_Pijj,"axG",@progbits,_Z11rank_kernelILj255ELj1ELj4ELb0EL18RadixRankAlgorithm1EhEvPKT4_Pijj,comdat
	.protected	_Z11rank_kernelILj255ELj1ELj4ELb0EL18RadixRankAlgorithm1EhEvPKT4_Pijj ; -- Begin function _Z11rank_kernelILj255ELj1ELj4ELb0EL18RadixRankAlgorithm1EhEvPKT4_Pijj
	.globl	_Z11rank_kernelILj255ELj1ELj4ELb0EL18RadixRankAlgorithm1EhEvPKT4_Pijj
	.p2align	8
	.type	_Z11rank_kernelILj255ELj1ELj4ELb0EL18RadixRankAlgorithm1EhEvPKT4_Pijj,@function
_Z11rank_kernelILj255ELj1ELj4ELb0EL18RadixRankAlgorithm1EhEvPKT4_Pijj: ; @_Z11rank_kernelILj255ELj1ELj4ELb0EL18RadixRankAlgorithm1EhEvPKT4_Pijj
; %bb.0:
	s_load_dwordx4 s[0:3], s[4:5], 0x0
	s_mulk_i32 s6, 0xff
	v_lshlrev_b32_e32 v9, 2, v0
	s_movk_i32 s8, 0xff
	s_mov_b32 s7, 0
	s_waitcnt lgkmcnt(0)
	s_add_u32 s0, s0, s6
	s_addc_u32 s1, s1, 0
	global_load_ubyte v1, v0, s[0:1]
	s_movk_i32 s0, 0x3fc
	v_mov_b32_e32 v2, 0
	v_add_u32_e32 v3, 0x7f8, v9
	v_cmp_gt_u32_e32 vcc, s0, v0
	ds_write2_b32 v9, v2, v2 offset1:255
	ds_write2_b32 v3, v2, v2 offset1:255
	s_and_saveexec_b64 s[0:1], vcc
	s_cbranch_execz .LBB40_5
; %bb.1:
	s_movk_i32 s9, 0x2fd
	v_cmp_gt_u32_e32 vcc, s9, v0
	ds_write_b32 v9, v2 offset:4080
	s_and_b64 exec, exec, vcc
	s_cbranch_execz .LBB40_5
; %bb.2:
	s_movk_i32 s9, 0x1fe
	v_mov_b32_e32 v2, 0
	v_cmp_gt_u32_e32 vcc, s9, v0
	ds_write_b32 v9, v2 offset:5100
	s_and_b64 exec, exec, vcc
	s_cbranch_execz .LBB40_5
; %bb.3:
	s_movk_i32 s9, 0xff
	v_cmp_gt_u32_e32 vcc, s9, v0
	ds_write_b32 v9, v2 offset:6120
	s_and_b64 exec, exec, vcc
; %bb.4:
	v_mov_b32_e32 v2, 0
	ds_write_b32 v9, v2 offset:7140
.LBB40_5:
	s_or_b64 exec, exec, s[0:1]
	s_load_dwordx2 s[0:1], s[4:5], 0x10
	v_mad_u32_u24 v12, v0, 28, v9
	s_waitcnt lgkmcnt(0)
	s_and_b32 s1, s1, 31
	s_and_b32 s0, s0, 31
	s_add_i32 s0, s0, s1
	s_sub_i32 s4, 32, s1
	s_sub_i32 s0, 32, s0
	s_waitcnt vmcnt(0)
	v_lshlrev_b32_sdwa v1, s0, v1 dst_sel:DWORD dst_unused:UNUSED_PAD src0_sel:DWORD src1_sel:BYTE_0
	s_cmp_lg_u32 s1, 0
	v_bfe_u32 v1, v1, s4, 8
	s_cselect_b64 vcc, -1, 0
	v_cndmask_b32_e32 v1, 0, v1, vcc
	v_and_b32_e32 v2, 7, v1
	v_lshrrev_b32_e32 v1, 2, v1
	v_mad_u32_u24 v2, v2, s8, v0
	v_and_b32_e32 v1, 62, v1
	v_lshl_add_u32 v10, v2, 2, v1
	ds_read_u16 v11, v10
	s_waitcnt lgkmcnt(0)
	v_add_u16_e32 v1, 1, v11
	ds_write_b16 v10, v1
	s_waitcnt lgkmcnt(0)
	s_barrier
	ds_read_b128 v[5:8], v12
	ds_read_b128 v[1:4], v12 offset:16
	s_waitcnt lgkmcnt(1)
	v_add_u32_e32 v13, v6, v5
	v_add3_u32 v13, v13, v7, v8
	s_waitcnt lgkmcnt(0)
	v_add3_u32 v13, v13, v1, v2
	v_add3_u32 v13, v13, v3, v4
	v_mbcnt_lo_u32_b32 v4, -1, 0
	v_mbcnt_hi_u32_b32 v4, -1, v4
	v_and_b32_e32 v14, 15, v4
	v_mov_b32_dpp v15, v13 row_shr:1 row_mask:0xf bank_mask:0xf
	v_cmp_ne_u32_e32 vcc, 0, v14
	v_cndmask_b32_e32 v15, 0, v15, vcc
	v_add_u32_e32 v13, v15, v13
	v_cmp_lt_u32_e32 vcc, 1, v14
	s_nop 0
	v_mov_b32_dpp v15, v13 row_shr:2 row_mask:0xf bank_mask:0xf
	v_cndmask_b32_e32 v15, 0, v15, vcc
	v_add_u32_e32 v13, v13, v15
	v_cmp_lt_u32_e32 vcc, 3, v14
	s_nop 0
	v_mov_b32_dpp v15, v13 row_shr:4 row_mask:0xf bank_mask:0xf
	;; [unrolled: 5-line block ×3, first 2 shown]
	v_cndmask_b32_e32 v14, 0, v15, vcc
	v_add_u32_e32 v13, v13, v14
	v_bfe_i32 v15, v4, 4, 1
	v_cmp_lt_u32_e32 vcc, 31, v4
	v_mov_b32_dpp v14, v13 row_bcast:15 row_mask:0xf bank_mask:0xf
	v_and_b32_e32 v14, v15, v14
	v_add_u32_e32 v13, v13, v14
	v_and_b32_e32 v15, 0xc0, v0
	v_min_u32_e32 v15, 0xbf, v15
	v_mov_b32_dpp v14, v13 row_bcast:31 row_mask:0xf bank_mask:0xf
	v_cndmask_b32_e32 v14, 0, v14, vcc
	v_add_u32_e32 v13, v13, v14
	v_lshrrev_b32_e32 v14, 6, v0
	v_add_u32_e32 v15, 63, v15
	v_cmp_eq_u32_e32 vcc, v0, v15
	v_lshlrev_b32_e32 v14, 2, v14
	s_and_saveexec_b64 s[0:1], vcc
; %bb.6:
	ds_write_b32 v14, v13 offset:8160
; %bb.7:
	s_or_b64 exec, exec, s[0:1]
	v_cmp_gt_u32_e32 vcc, 4, v0
	s_waitcnt lgkmcnt(0)
	s_barrier
	s_and_saveexec_b64 s[0:1], vcc
	s_cbranch_execz .LBB40_9
; %bb.8:
	s_movk_i32 s4, 0xffe4
	v_mad_i32_i24 v15, v0, s4, v12
	ds_read_b32 v16, v15 offset:8160
	v_and_b32_e32 v17, 3, v4
	v_cmp_ne_u32_e32 vcc, 0, v17
	s_waitcnt lgkmcnt(0)
	v_mov_b32_dpp v18, v16 row_shr:1 row_mask:0xf bank_mask:0xf
	v_cndmask_b32_e32 v18, 0, v18, vcc
	v_add_u32_e32 v16, v18, v16
	v_cmp_lt_u32_e32 vcc, 1, v17
	s_nop 0
	v_mov_b32_dpp v18, v16 row_shr:2 row_mask:0xf bank_mask:0xf
	v_cndmask_b32_e32 v17, 0, v18, vcc
	v_add_u32_e32 v16, v16, v17
	ds_write_b32 v15, v16 offset:8160
.LBB40_9:
	s_or_b64 exec, exec, s[0:1]
	v_cmp_lt_u32_e32 vcc, 63, v0
	v_mov_b32_e32 v0, 0
	v_mov_b32_e32 v15, 0
	s_waitcnt lgkmcnt(0)
	s_barrier
	s_and_saveexec_b64 s[0:1], vcc
; %bb.10:
	ds_read_b32 v15, v14 offset:8156
; %bb.11:
	s_or_b64 exec, exec, s[0:1]
	v_subrev_co_u32_e32 v14, vcc, 1, v4
	v_and_b32_e32 v16, 64, v4
	v_cmp_lt_i32_e64 s[0:1], v14, v16
	v_cndmask_b32_e64 v4, v14, v4, s[0:1]
	s_waitcnt lgkmcnt(0)
	v_add_u32_e32 v13, v15, v13
	v_lshlrev_b32_e32 v4, 2, v4
	ds_bpermute_b32 v4, v4, v13
	ds_read_b32 v0, v0 offset:8172
	s_lshl_b64 s[0:1], s[6:7], 2
	s_add_u32 s0, s2, s0
	s_addc_u32 s1, s3, s1
	s_waitcnt lgkmcnt(1)
	v_cndmask_b32_e32 v4, v4, v15, vcc
	s_waitcnt lgkmcnt(0)
	v_lshl_add_u32 v4, v0, 16, v4
	v_add_u32_e32 v5, v4, v5
	v_add_u32_e32 v6, v5, v6
	;; [unrolled: 1-line block ×7, first 2 shown]
	ds_write_b128 v12, v[4:7]
	ds_write_b128 v12, v[0:3] offset:16
	s_waitcnt lgkmcnt(0)
	s_barrier
	ds_read_u16 v0, v10
	s_waitcnt lgkmcnt(0)
	v_add_u32_sdwa v0, v0, v11 dst_sel:DWORD dst_unused:UNUSED_PAD src0_sel:DWORD src1_sel:WORD_0
	global_store_dword v9, v0, s[0:1]
	s_endpgm
	.section	.rodata,"a",@progbits
	.p2align	6, 0x0
	.amdhsa_kernel _Z11rank_kernelILj255ELj1ELj4ELb0EL18RadixRankAlgorithm1EhEvPKT4_Pijj
		.amdhsa_group_segment_fixed_size 8176
		.amdhsa_private_segment_fixed_size 0
		.amdhsa_kernarg_size 24
		.amdhsa_user_sgpr_count 6
		.amdhsa_user_sgpr_private_segment_buffer 1
		.amdhsa_user_sgpr_dispatch_ptr 0
		.amdhsa_user_sgpr_queue_ptr 0
		.amdhsa_user_sgpr_kernarg_segment_ptr 1
		.amdhsa_user_sgpr_dispatch_id 0
		.amdhsa_user_sgpr_flat_scratch_init 0
		.amdhsa_user_sgpr_private_segment_size 0
		.amdhsa_uses_dynamic_stack 0
		.amdhsa_system_sgpr_private_segment_wavefront_offset 0
		.amdhsa_system_sgpr_workgroup_id_x 1
		.amdhsa_system_sgpr_workgroup_id_y 0
		.amdhsa_system_sgpr_workgroup_id_z 0
		.amdhsa_system_sgpr_workgroup_info 0
		.amdhsa_system_vgpr_workitem_id 0
		.amdhsa_next_free_vgpr 29
		.amdhsa_next_free_sgpr 61
		.amdhsa_reserve_vcc 1
		.amdhsa_reserve_flat_scratch 0
		.amdhsa_float_round_mode_32 0
		.amdhsa_float_round_mode_16_64 0
		.amdhsa_float_denorm_mode_32 3
		.amdhsa_float_denorm_mode_16_64 3
		.amdhsa_dx10_clamp 1
		.amdhsa_ieee_mode 1
		.amdhsa_fp16_overflow 0
		.amdhsa_exception_fp_ieee_invalid_op 0
		.amdhsa_exception_fp_denorm_src 0
		.amdhsa_exception_fp_ieee_div_zero 0
		.amdhsa_exception_fp_ieee_overflow 0
		.amdhsa_exception_fp_ieee_underflow 0
		.amdhsa_exception_fp_ieee_inexact 0
		.amdhsa_exception_int_div_zero 0
	.end_amdhsa_kernel
	.section	.text._Z11rank_kernelILj255ELj1ELj4ELb0EL18RadixRankAlgorithm1EhEvPKT4_Pijj,"axG",@progbits,_Z11rank_kernelILj255ELj1ELj4ELb0EL18RadixRankAlgorithm1EhEvPKT4_Pijj,comdat
.Lfunc_end40:
	.size	_Z11rank_kernelILj255ELj1ELj4ELb0EL18RadixRankAlgorithm1EhEvPKT4_Pijj, .Lfunc_end40-_Z11rank_kernelILj255ELj1ELj4ELb0EL18RadixRankAlgorithm1EhEvPKT4_Pijj
                                        ; -- End function
	.set _Z11rank_kernelILj255ELj1ELj4ELb0EL18RadixRankAlgorithm1EhEvPKT4_Pijj.num_vgpr, 19
	.set _Z11rank_kernelILj255ELj1ELj4ELb0EL18RadixRankAlgorithm1EhEvPKT4_Pijj.num_agpr, 0
	.set _Z11rank_kernelILj255ELj1ELj4ELb0EL18RadixRankAlgorithm1EhEvPKT4_Pijj.numbered_sgpr, 10
	.set _Z11rank_kernelILj255ELj1ELj4ELb0EL18RadixRankAlgorithm1EhEvPKT4_Pijj.num_named_barrier, 0
	.set _Z11rank_kernelILj255ELj1ELj4ELb0EL18RadixRankAlgorithm1EhEvPKT4_Pijj.private_seg_size, 0
	.set _Z11rank_kernelILj255ELj1ELj4ELb0EL18RadixRankAlgorithm1EhEvPKT4_Pijj.uses_vcc, 1
	.set _Z11rank_kernelILj255ELj1ELj4ELb0EL18RadixRankAlgorithm1EhEvPKT4_Pijj.uses_flat_scratch, 0
	.set _Z11rank_kernelILj255ELj1ELj4ELb0EL18RadixRankAlgorithm1EhEvPKT4_Pijj.has_dyn_sized_stack, 0
	.set _Z11rank_kernelILj255ELj1ELj4ELb0EL18RadixRankAlgorithm1EhEvPKT4_Pijj.has_recursion, 0
	.set _Z11rank_kernelILj255ELj1ELj4ELb0EL18RadixRankAlgorithm1EhEvPKT4_Pijj.has_indirect_call, 0
	.section	.AMDGPU.csdata,"",@progbits
; Kernel info:
; codeLenInByte = 872
; TotalNumSgprs: 14
; NumVgprs: 19
; ScratchSize: 0
; MemoryBound: 0
; FloatMode: 240
; IeeeMode: 1
; LDSByteSize: 8176 bytes/workgroup (compile time only)
; SGPRBlocks: 8
; VGPRBlocks: 7
; NumSGPRsForWavesPerEU: 65
; NumVGPRsForWavesPerEU: 29
; Occupancy: 8
; WaveLimiterHint : 0
; COMPUTE_PGM_RSRC2:SCRATCH_EN: 0
; COMPUTE_PGM_RSRC2:USER_SGPR: 6
; COMPUTE_PGM_RSRC2:TRAP_HANDLER: 0
; COMPUTE_PGM_RSRC2:TGID_X_EN: 1
; COMPUTE_PGM_RSRC2:TGID_Y_EN: 0
; COMPUTE_PGM_RSRC2:TGID_Z_EN: 0
; COMPUTE_PGM_RSRC2:TIDIG_COMP_CNT: 0
	.section	.text._Z11rank_kernelILj162ELj1ELj4ELb0EL18RadixRankAlgorithm1EjEvPKT4_Pijj,"axG",@progbits,_Z11rank_kernelILj162ELj1ELj4ELb0EL18RadixRankAlgorithm1EjEvPKT4_Pijj,comdat
	.protected	_Z11rank_kernelILj162ELj1ELj4ELb0EL18RadixRankAlgorithm1EjEvPKT4_Pijj ; -- Begin function _Z11rank_kernelILj162ELj1ELj4ELb0EL18RadixRankAlgorithm1EjEvPKT4_Pijj
	.globl	_Z11rank_kernelILj162ELj1ELj4ELb0EL18RadixRankAlgorithm1EjEvPKT4_Pijj
	.p2align	8
	.type	_Z11rank_kernelILj162ELj1ELj4ELb0EL18RadixRankAlgorithm1EjEvPKT4_Pijj,@function
_Z11rank_kernelILj162ELj1ELj4ELb0EL18RadixRankAlgorithm1EjEvPKT4_Pijj: ; @_Z11rank_kernelILj162ELj1ELj4ELb0EL18RadixRankAlgorithm1EjEvPKT4_Pijj
; %bb.0:
	s_load_dwordx4 s[0:3], s[4:5], 0x0
	s_mulk_i32 s6, 0xa2
	s_mov_b32 s7, 0
	s_lshl_b64 s[6:7], s[6:7], 2
	v_lshlrev_b32_e32 v9, 2, v0
	s_waitcnt lgkmcnt(0)
	s_add_u32 s0, s0, s6
	s_addc_u32 s1, s1, s7
	global_load_dword v1, v9, s[0:1]
	s_movk_i32 s0, 0x3cc
	s_movk_i32 s8, 0xa2
	v_mov_b32_e32 v2, 0
	v_cmp_gt_u32_e32 vcc, s0, v0
	ds_write2_b32 v9, v2, v2 offset1:162
	s_and_saveexec_b64 s[0:1], vcc
	s_cbranch_execz .LBB41_7
; %bb.1:
	s_movk_i32 s9, 0x32a
	v_cmp_gt_u32_e32 vcc, s9, v0
	ds_write_b32 v9, v2 offset:1296
	s_and_b64 exec, exec, vcc
	s_cbranch_execz .LBB41_7
; %bb.2:
	s_movk_i32 s9, 0x288
	v_mov_b32_e32 v2, 0
	v_cmp_gt_u32_e32 vcc, s9, v0
	ds_write_b32 v9, v2 offset:1944
	s_and_b64 exec, exec, vcc
	s_cbranch_execz .LBB41_7
; %bb.3:
	s_movk_i32 s9, 0x1e6
	v_cmp_gt_u32_e32 vcc, s9, v0
	ds_write_b32 v9, v2 offset:2592
	s_and_b64 exec, exec, vcc
	s_cbranch_execz .LBB41_7
; %bb.4:
	s_movk_i32 s9, 0x144
	v_mov_b32_e32 v2, 0
	v_cmp_gt_u32_e32 vcc, s9, v0
	ds_write_b32 v9, v2 offset:3240
	s_and_b64 exec, exec, vcc
	s_cbranch_execz .LBB41_7
; %bb.5:
	s_movk_i32 s9, 0xa2
	v_cmp_gt_u32_e32 vcc, s9, v0
	ds_write_b32 v9, v2 offset:3888
	s_and_b64 exec, exec, vcc
; %bb.6:
	v_mov_b32_e32 v2, 0
	ds_write_b32 v9, v2 offset:4536
.LBB41_7:
	s_or_b64 exec, exec, s[0:1]
	s_load_dwordx2 s[0:1], s[4:5], 0x10
	v_mad_u32_u24 v12, v0, 28, v9
	s_waitcnt lgkmcnt(0)
	s_and_b32 s1, s1, 31
	s_and_b32 s0, s0, 31
	s_add_i32 s0, s0, s1
	s_sub_i32 s4, 32, s1
	s_sub_i32 s0, 32, s0
	s_waitcnt vmcnt(0)
	v_lshlrev_b32_e32 v1, s0, v1
	s_cmp_lg_u32 s1, 0
	v_lshrrev_b32_e32 v1, s4, v1
	s_cselect_b64 vcc, -1, 0
	v_cndmask_b32_e32 v1, 0, v1, vcc
	v_and_b32_e32 v2, 7, v1
	v_lshrrev_b32_e32 v1, 2, v1
	v_mad_u32_u24 v2, v2, s8, v0
	v_and_b32_e32 v1, 0x3ffffffe, v1
	v_lshl_add_u32 v10, v2, 2, v1
	ds_read_u16 v11, v10
	s_waitcnt lgkmcnt(0)
	v_add_u16_e32 v1, 1, v11
	ds_write_b16 v10, v1
	s_waitcnt lgkmcnt(0)
	s_barrier
	ds_read_b128 v[5:8], v12
	ds_read_b128 v[1:4], v12 offset:16
	s_waitcnt lgkmcnt(1)
	v_add_u32_e32 v13, v6, v5
	v_add3_u32 v13, v13, v7, v8
	s_waitcnt lgkmcnt(0)
	v_add3_u32 v13, v13, v1, v2
	v_add3_u32 v13, v13, v3, v4
	v_mbcnt_lo_u32_b32 v4, -1, 0
	v_mbcnt_hi_u32_b32 v4, -1, v4
	v_and_b32_e32 v14, 15, v4
	v_mov_b32_dpp v15, v13 row_shr:1 row_mask:0xf bank_mask:0xf
	v_cmp_ne_u32_e32 vcc, 0, v14
	v_cndmask_b32_e32 v15, 0, v15, vcc
	v_add_u32_e32 v13, v15, v13
	v_cmp_lt_u32_e32 vcc, 1, v14
	s_nop 0
	v_mov_b32_dpp v15, v13 row_shr:2 row_mask:0xf bank_mask:0xf
	v_cndmask_b32_e32 v15, 0, v15, vcc
	v_add_u32_e32 v13, v13, v15
	v_cmp_lt_u32_e32 vcc, 3, v14
	s_nop 0
	v_mov_b32_dpp v15, v13 row_shr:4 row_mask:0xf bank_mask:0xf
	;; [unrolled: 5-line block ×3, first 2 shown]
	v_cndmask_b32_e32 v14, 0, v15, vcc
	v_add_u32_e32 v13, v13, v14
	v_bfe_i32 v15, v4, 4, 1
	v_cmp_lt_u32_e32 vcc, 31, v4
	v_mov_b32_dpp v14, v13 row_bcast:15 row_mask:0xf bank_mask:0xf
	v_and_b32_e32 v14, v15, v14
	v_add_u32_e32 v13, v13, v14
	v_and_b32_e32 v15, 0xc0, v0
	v_min_u32_e32 v15, 0x62, v15
	v_mov_b32_dpp v14, v13 row_bcast:31 row_mask:0xf bank_mask:0xf
	v_cndmask_b32_e32 v14, 0, v14, vcc
	v_add_u32_e32 v13, v13, v14
	v_lshrrev_b32_e32 v14, 6, v0
	v_add_u32_e32 v15, 63, v15
	v_cmp_eq_u32_e32 vcc, v0, v15
	v_lshlrev_b32_e32 v14, 2, v14
	s_and_saveexec_b64 s[0:1], vcc
; %bb.8:
	ds_write_b32 v14, v13 offset:5184
; %bb.9:
	s_or_b64 exec, exec, s[0:1]
	v_cmp_gt_u32_e32 vcc, 3, v0
	s_waitcnt lgkmcnt(0)
	s_barrier
	s_and_saveexec_b64 s[0:1], vcc
	s_cbranch_execz .LBB41_11
; %bb.10:
	s_movk_i32 s4, 0xffe4
	v_mad_i32_i24 v15, v0, s4, v12
	ds_read_b32 v16, v15 offset:5184
	v_and_b32_e32 v17, 3, v4
	v_cmp_ne_u32_e32 vcc, 0, v17
	s_waitcnt lgkmcnt(0)
	v_mov_b32_dpp v18, v16 row_shr:1 row_mask:0xf bank_mask:0xf
	v_cndmask_b32_e32 v18, 0, v18, vcc
	v_add_u32_e32 v16, v18, v16
	v_cmp_lt_u32_e32 vcc, 1, v17
	s_nop 0
	v_mov_b32_dpp v18, v16 row_shr:2 row_mask:0xf bank_mask:0xf
	v_cndmask_b32_e32 v17, 0, v18, vcc
	v_add_u32_e32 v16, v16, v17
	ds_write_b32 v15, v16 offset:5184
.LBB41_11:
	s_or_b64 exec, exec, s[0:1]
	v_cmp_lt_u32_e32 vcc, 63, v0
	v_mov_b32_e32 v0, 0
	v_mov_b32_e32 v15, 0
	s_waitcnt lgkmcnt(0)
	s_barrier
	s_and_saveexec_b64 s[0:1], vcc
; %bb.12:
	ds_read_b32 v15, v14 offset:5180
; %bb.13:
	s_or_b64 exec, exec, s[0:1]
	v_subrev_co_u32_e32 v14, vcc, 1, v4
	v_and_b32_e32 v16, 64, v4
	v_cmp_lt_i32_e64 s[0:1], v14, v16
	v_cndmask_b32_e64 v4, v14, v4, s[0:1]
	s_waitcnt lgkmcnt(0)
	v_add_u32_e32 v13, v15, v13
	v_lshlrev_b32_e32 v4, 2, v4
	ds_bpermute_b32 v4, v4, v13
	ds_read_b32 v0, v0 offset:5192
	s_add_u32 s0, s2, s6
	s_addc_u32 s1, s3, s7
	s_waitcnt lgkmcnt(1)
	v_cndmask_b32_e32 v4, v4, v15, vcc
	s_waitcnt lgkmcnt(0)
	v_lshl_add_u32 v4, v0, 16, v4
	v_add_u32_e32 v5, v4, v5
	v_add_u32_e32 v6, v5, v6
	;; [unrolled: 1-line block ×7, first 2 shown]
	ds_write_b128 v12, v[4:7]
	ds_write_b128 v12, v[0:3] offset:16
	s_waitcnt lgkmcnt(0)
	s_barrier
	ds_read_u16 v0, v10
	s_waitcnt lgkmcnt(0)
	v_add_u32_sdwa v0, v0, v11 dst_sel:DWORD dst_unused:UNUSED_PAD src0_sel:DWORD src1_sel:WORD_0
	global_store_dword v9, v0, s[0:1]
	s_endpgm
	.section	.rodata,"a",@progbits
	.p2align	6, 0x0
	.amdhsa_kernel _Z11rank_kernelILj162ELj1ELj4ELb0EL18RadixRankAlgorithm1EjEvPKT4_Pijj
		.amdhsa_group_segment_fixed_size 5200
		.amdhsa_private_segment_fixed_size 0
		.amdhsa_kernarg_size 24
		.amdhsa_user_sgpr_count 6
		.amdhsa_user_sgpr_private_segment_buffer 1
		.amdhsa_user_sgpr_dispatch_ptr 0
		.amdhsa_user_sgpr_queue_ptr 0
		.amdhsa_user_sgpr_kernarg_segment_ptr 1
		.amdhsa_user_sgpr_dispatch_id 0
		.amdhsa_user_sgpr_flat_scratch_init 0
		.amdhsa_user_sgpr_private_segment_size 0
		.amdhsa_uses_dynamic_stack 0
		.amdhsa_system_sgpr_private_segment_wavefront_offset 0
		.amdhsa_system_sgpr_workgroup_id_x 1
		.amdhsa_system_sgpr_workgroup_id_y 0
		.amdhsa_system_sgpr_workgroup_id_z 0
		.amdhsa_system_sgpr_workgroup_info 0
		.amdhsa_system_vgpr_workitem_id 0
		.amdhsa_next_free_vgpr 25
		.amdhsa_next_free_sgpr 61
		.amdhsa_reserve_vcc 1
		.amdhsa_reserve_flat_scratch 0
		.amdhsa_float_round_mode_32 0
		.amdhsa_float_round_mode_16_64 0
		.amdhsa_float_denorm_mode_32 3
		.amdhsa_float_denorm_mode_16_64 3
		.amdhsa_dx10_clamp 1
		.amdhsa_ieee_mode 1
		.amdhsa_fp16_overflow 0
		.amdhsa_exception_fp_ieee_invalid_op 0
		.amdhsa_exception_fp_denorm_src 0
		.amdhsa_exception_fp_ieee_div_zero 0
		.amdhsa_exception_fp_ieee_overflow 0
		.amdhsa_exception_fp_ieee_underflow 0
		.amdhsa_exception_fp_ieee_inexact 0
		.amdhsa_exception_int_div_zero 0
	.end_amdhsa_kernel
	.section	.text._Z11rank_kernelILj162ELj1ELj4ELb0EL18RadixRankAlgorithm1EjEvPKT4_Pijj,"axG",@progbits,_Z11rank_kernelILj162ELj1ELj4ELb0EL18RadixRankAlgorithm1EjEvPKT4_Pijj,comdat
.Lfunc_end41:
	.size	_Z11rank_kernelILj162ELj1ELj4ELb0EL18RadixRankAlgorithm1EjEvPKT4_Pijj, .Lfunc_end41-_Z11rank_kernelILj162ELj1ELj4ELb0EL18RadixRankAlgorithm1EjEvPKT4_Pijj
                                        ; -- End function
	.set _Z11rank_kernelILj162ELj1ELj4ELb0EL18RadixRankAlgorithm1EjEvPKT4_Pijj.num_vgpr, 19
	.set _Z11rank_kernelILj162ELj1ELj4ELb0EL18RadixRankAlgorithm1EjEvPKT4_Pijj.num_agpr, 0
	.set _Z11rank_kernelILj162ELj1ELj4ELb0EL18RadixRankAlgorithm1EjEvPKT4_Pijj.numbered_sgpr, 10
	.set _Z11rank_kernelILj162ELj1ELj4ELb0EL18RadixRankAlgorithm1EjEvPKT4_Pijj.num_named_barrier, 0
	.set _Z11rank_kernelILj162ELj1ELj4ELb0EL18RadixRankAlgorithm1EjEvPKT4_Pijj.private_seg_size, 0
	.set _Z11rank_kernelILj162ELj1ELj4ELb0EL18RadixRankAlgorithm1EjEvPKT4_Pijj.uses_vcc, 1
	.set _Z11rank_kernelILj162ELj1ELj4ELb0EL18RadixRankAlgorithm1EjEvPKT4_Pijj.uses_flat_scratch, 0
	.set _Z11rank_kernelILj162ELj1ELj4ELb0EL18RadixRankAlgorithm1EjEvPKT4_Pijj.has_dyn_sized_stack, 0
	.set _Z11rank_kernelILj162ELj1ELj4ELb0EL18RadixRankAlgorithm1EjEvPKT4_Pijj.has_recursion, 0
	.set _Z11rank_kernelILj162ELj1ELj4ELb0EL18RadixRankAlgorithm1EjEvPKT4_Pijj.has_indirect_call, 0
	.section	.AMDGPU.csdata,"",@progbits
; Kernel info:
; codeLenInByte = 904
; TotalNumSgprs: 14
; NumVgprs: 19
; ScratchSize: 0
; MemoryBound: 0
; FloatMode: 240
; IeeeMode: 1
; LDSByteSize: 5200 bytes/workgroup (compile time only)
; SGPRBlocks: 8
; VGPRBlocks: 6
; NumSGPRsForWavesPerEU: 65
; NumVGPRsForWavesPerEU: 25
; Occupancy: 9
; WaveLimiterHint : 0
; COMPUTE_PGM_RSRC2:SCRATCH_EN: 0
; COMPUTE_PGM_RSRC2:USER_SGPR: 6
; COMPUTE_PGM_RSRC2:TRAP_HANDLER: 0
; COMPUTE_PGM_RSRC2:TGID_X_EN: 1
; COMPUTE_PGM_RSRC2:TGID_Y_EN: 0
; COMPUTE_PGM_RSRC2:TGID_Z_EN: 0
; COMPUTE_PGM_RSRC2:TIDIG_COMP_CNT: 0
	.section	.text._Z11rank_kernelILj510ELj1ELj4ELb1EL18RadixRankAlgorithm1ExEvPKT4_Pijj,"axG",@progbits,_Z11rank_kernelILj510ELj1ELj4ELb1EL18RadixRankAlgorithm1ExEvPKT4_Pijj,comdat
	.protected	_Z11rank_kernelILj510ELj1ELj4ELb1EL18RadixRankAlgorithm1ExEvPKT4_Pijj ; -- Begin function _Z11rank_kernelILj510ELj1ELj4ELb1EL18RadixRankAlgorithm1ExEvPKT4_Pijj
	.globl	_Z11rank_kernelILj510ELj1ELj4ELb1EL18RadixRankAlgorithm1ExEvPKT4_Pijj
	.p2align	8
	.type	_Z11rank_kernelILj510ELj1ELj4ELb1EL18RadixRankAlgorithm1ExEvPKT4_Pijj,@function
_Z11rank_kernelILj510ELj1ELj4ELb1EL18RadixRankAlgorithm1ExEvPKT4_Pijj: ; @_Z11rank_kernelILj510ELj1ELj4ELb1EL18RadixRankAlgorithm1ExEvPKT4_Pijj
; %bb.0:
	s_load_dwordx4 s[0:3], s[4:5], 0x0
	s_mulk_i32 s6, 0x1fe
	s_mov_b32 s7, 0
	s_lshl_b64 s[8:9], s[6:7], 3
	v_lshlrev_b32_e32 v1, 3, v0
	s_waitcnt lgkmcnt(0)
	s_add_u32 s0, s0, s8
	s_addc_u32 s1, s1, s9
	global_load_dwordx2 v[1:2], v1, s[0:1]
	s_movk_i32 s0, 0x3fc
	s_movk_i32 s8, 0x1fe
	v_mov_b32_e32 v3, 0
	v_lshlrev_b32_e32 v9, 2, v0
	v_cmp_gt_u32_e32 vcc, s0, v0
	ds_write_b32 v9, v3
	ds_write_b32 v9, v3 offset:2040
	ds_write_b32 v9, v3 offset:4080
	;; [unrolled: 1-line block ×5, first 2 shown]
	s_and_saveexec_b64 s[0:1], vcc
	s_cbranch_execz .LBB42_3
; %bb.1:
	v_cmp_gt_u32_e32 vcc, s8, v0
	ds_write_b32 v9, v3 offset:12240
	s_and_b64 exec, exec, vcc
; %bb.2:
	v_mov_b32_e32 v3, 0
	ds_write_b32 v9, v3 offset:14280
.LBB42_3:
	s_or_b64 exec, exec, s[0:1]
	s_load_dwordx2 s[0:1], s[4:5], 0x10
	s_waitcnt lgkmcnt(0)
	s_and_b32 s1, s1, 63
	s_cmp_lg_u32 s1, 0
	s_cbranch_scc0 .LBB42_5
; %bb.4:
	s_and_b32 s0, s0, 63
	s_add_i32 s0, s0, s1
	s_waitcnt vmcnt(0)
	v_xor_b32_e32 v2, 0x80000000, v2
	s_sub_i32 s0, 64, s0
	v_lshlrev_b64 v[1:2], s0, v[1:2]
	s_sub_i32 s0, 64, s1
	v_lshrrev_b64 v[1:2], s0, v[1:2]
	v_xor_b32_e32 v1, 15, v1
	s_branch .LBB42_6
.LBB42_5:
	s_waitcnt vmcnt(0)
	v_mov_b32_e32 v1, 15
.LBB42_6:
	v_and_b32_e32 v2, 7, v1
	s_movk_i32 s0, 0x1fe
	v_lshrrev_b32_e32 v1, 2, v1
	v_mad_u32_u24 v2, v2, s0, v0
	v_and_b32_e32 v1, 0x3ffffffe, v1
	v_lshl_add_u32 v10, v2, 2, v1
	ds_read_u16 v11, v10
	v_mad_u32_u24 v12, v0, 28, v9
	s_waitcnt lgkmcnt(0)
	v_add_u16_e32 v1, 1, v11
	ds_write_b16 v10, v1
	s_waitcnt lgkmcnt(0)
	s_barrier
	ds_read_b128 v[5:8], v12
	ds_read_b128 v[1:4], v12 offset:16
	s_waitcnt lgkmcnt(1)
	v_add_u32_e32 v13, v6, v5
	v_add3_u32 v13, v13, v7, v8
	s_waitcnt lgkmcnt(0)
	v_add3_u32 v13, v13, v1, v2
	v_add3_u32 v13, v13, v3, v4
	v_mbcnt_lo_u32_b32 v4, -1, 0
	v_mbcnt_hi_u32_b32 v4, -1, v4
	v_and_b32_e32 v14, 15, v4
	v_mov_b32_dpp v15, v13 row_shr:1 row_mask:0xf bank_mask:0xf
	v_cmp_ne_u32_e32 vcc, 0, v14
	v_cndmask_b32_e32 v15, 0, v15, vcc
	v_add_u32_e32 v13, v15, v13
	v_cmp_lt_u32_e32 vcc, 1, v14
	s_nop 0
	v_mov_b32_dpp v15, v13 row_shr:2 row_mask:0xf bank_mask:0xf
	v_cndmask_b32_e32 v15, 0, v15, vcc
	v_add_u32_e32 v13, v13, v15
	v_cmp_lt_u32_e32 vcc, 3, v14
	s_nop 0
	v_mov_b32_dpp v15, v13 row_shr:4 row_mask:0xf bank_mask:0xf
	;; [unrolled: 5-line block ×3, first 2 shown]
	v_cndmask_b32_e32 v14, 0, v15, vcc
	v_add_u32_e32 v13, v13, v14
	v_bfe_i32 v15, v4, 4, 1
	v_cmp_lt_u32_e32 vcc, 31, v4
	v_mov_b32_dpp v14, v13 row_bcast:15 row_mask:0xf bank_mask:0xf
	v_and_b32_e32 v14, v15, v14
	v_add_u32_e32 v13, v13, v14
	v_and_b32_e32 v15, 0x1c0, v0
	v_min_u32_e32 v15, 0x1be, v15
	v_mov_b32_dpp v14, v13 row_bcast:31 row_mask:0xf bank_mask:0xf
	v_cndmask_b32_e32 v14, 0, v14, vcc
	v_add_u32_e32 v13, v13, v14
	v_lshrrev_b32_e32 v14, 6, v0
	v_add_u32_e32 v15, 63, v15
	v_cmp_eq_u32_e32 vcc, v0, v15
	v_lshlrev_b32_e32 v14, 2, v14
	s_and_saveexec_b64 s[0:1], vcc
	s_xor_b64 s[0:1], exec, s[0:1]
; %bb.7:
	ds_write_b32 v14, v13 offset:16320
; %bb.8:
	s_or_b64 exec, exec, s[0:1]
	v_cmp_gt_u32_e32 vcc, 8, v0
	s_waitcnt lgkmcnt(0)
	s_barrier
	s_and_saveexec_b64 s[0:1], vcc
	s_cbranch_execz .LBB42_10
; %bb.9:
	s_movk_i32 s4, 0xffe4
	v_mad_i32_i24 v15, v0, s4, v12
	ds_read_b32 v16, v15 offset:16320
	v_and_b32_e32 v17, 7, v4
	v_cmp_ne_u32_e32 vcc, 0, v17
	s_waitcnt lgkmcnt(0)
	v_mov_b32_dpp v18, v16 row_shr:1 row_mask:0xf bank_mask:0xf
	v_cndmask_b32_e32 v18, 0, v18, vcc
	v_add_u32_e32 v16, v18, v16
	v_cmp_lt_u32_e32 vcc, 1, v17
	s_nop 0
	v_mov_b32_dpp v18, v16 row_shr:2 row_mask:0xf bank_mask:0xf
	v_cndmask_b32_e32 v18, 0, v18, vcc
	v_add_u32_e32 v16, v16, v18
	v_cmp_lt_u32_e32 vcc, 3, v17
	s_nop 0
	v_mov_b32_dpp v18, v16 row_shr:4 row_mask:0xf bank_mask:0xf
	v_cndmask_b32_e32 v17, 0, v18, vcc
	v_add_u32_e32 v16, v16, v17
	ds_write_b32 v15, v16 offset:16320
.LBB42_10:
	s_or_b64 exec, exec, s[0:1]
	v_cmp_lt_u32_e32 vcc, 63, v0
	v_mov_b32_e32 v0, 0
	v_mov_b32_e32 v15, 0
	s_waitcnt lgkmcnt(0)
	s_barrier
	s_and_saveexec_b64 s[0:1], vcc
; %bb.11:
	ds_read_b32 v15, v14 offset:16316
; %bb.12:
	s_or_b64 exec, exec, s[0:1]
	v_subrev_co_u32_e32 v14, vcc, 1, v4
	v_and_b32_e32 v16, 64, v4
	v_cmp_lt_i32_e64 s[0:1], v14, v16
	v_cndmask_b32_e64 v4, v14, v4, s[0:1]
	s_waitcnt lgkmcnt(0)
	v_add_u32_e32 v13, v15, v13
	v_lshlrev_b32_e32 v4, 2, v4
	ds_bpermute_b32 v4, v4, v13
	ds_read_b32 v0, v0 offset:16348
	s_lshl_b64 s[0:1], s[6:7], 2
	s_add_u32 s0, s2, s0
	s_addc_u32 s1, s3, s1
	s_waitcnt lgkmcnt(1)
	v_cndmask_b32_e32 v4, v4, v15, vcc
	s_waitcnt lgkmcnt(0)
	v_lshl_add_u32 v4, v0, 16, v4
	v_add_u32_e32 v5, v4, v5
	v_add_u32_e32 v6, v5, v6
	;; [unrolled: 1-line block ×7, first 2 shown]
	ds_write_b128 v12, v[4:7]
	ds_write_b128 v12, v[0:3] offset:16
	s_waitcnt lgkmcnt(0)
	s_barrier
	ds_read_u16 v0, v10
	s_waitcnt lgkmcnt(0)
	v_add_u32_sdwa v0, v0, v11 dst_sel:DWORD dst_unused:UNUSED_PAD src0_sel:DWORD src1_sel:WORD_0
	global_store_dword v9, v0, s[0:1]
	s_endpgm
	.section	.rodata,"a",@progbits
	.p2align	6, 0x0
	.amdhsa_kernel _Z11rank_kernelILj510ELj1ELj4ELb1EL18RadixRankAlgorithm1ExEvPKT4_Pijj
		.amdhsa_group_segment_fixed_size 16352
		.amdhsa_private_segment_fixed_size 0
		.amdhsa_kernarg_size 24
		.amdhsa_user_sgpr_count 6
		.amdhsa_user_sgpr_private_segment_buffer 1
		.amdhsa_user_sgpr_dispatch_ptr 0
		.amdhsa_user_sgpr_queue_ptr 0
		.amdhsa_user_sgpr_kernarg_segment_ptr 1
		.amdhsa_user_sgpr_dispatch_id 0
		.amdhsa_user_sgpr_flat_scratch_init 0
		.amdhsa_user_sgpr_private_segment_size 0
		.amdhsa_uses_dynamic_stack 0
		.amdhsa_system_sgpr_private_segment_wavefront_offset 0
		.amdhsa_system_sgpr_workgroup_id_x 1
		.amdhsa_system_sgpr_workgroup_id_y 0
		.amdhsa_system_sgpr_workgroup_id_z 0
		.amdhsa_system_sgpr_workgroup_info 0
		.amdhsa_system_vgpr_workitem_id 0
		.amdhsa_next_free_vgpr 29
		.amdhsa_next_free_sgpr 61
		.amdhsa_reserve_vcc 1
		.amdhsa_reserve_flat_scratch 0
		.amdhsa_float_round_mode_32 0
		.amdhsa_float_round_mode_16_64 0
		.amdhsa_float_denorm_mode_32 3
		.amdhsa_float_denorm_mode_16_64 3
		.amdhsa_dx10_clamp 1
		.amdhsa_ieee_mode 1
		.amdhsa_fp16_overflow 0
		.amdhsa_exception_fp_ieee_invalid_op 0
		.amdhsa_exception_fp_denorm_src 0
		.amdhsa_exception_fp_ieee_div_zero 0
		.amdhsa_exception_fp_ieee_overflow 0
		.amdhsa_exception_fp_ieee_underflow 0
		.amdhsa_exception_fp_ieee_inexact 0
		.amdhsa_exception_int_div_zero 0
	.end_amdhsa_kernel
	.section	.text._Z11rank_kernelILj510ELj1ELj4ELb1EL18RadixRankAlgorithm1ExEvPKT4_Pijj,"axG",@progbits,_Z11rank_kernelILj510ELj1ELj4ELb1EL18RadixRankAlgorithm1ExEvPKT4_Pijj,comdat
.Lfunc_end42:
	.size	_Z11rank_kernelILj510ELj1ELj4ELb1EL18RadixRankAlgorithm1ExEvPKT4_Pijj, .Lfunc_end42-_Z11rank_kernelILj510ELj1ELj4ELb1EL18RadixRankAlgorithm1ExEvPKT4_Pijj
                                        ; -- End function
	.set _Z11rank_kernelILj510ELj1ELj4ELb1EL18RadixRankAlgorithm1ExEvPKT4_Pijj.num_vgpr, 19
	.set _Z11rank_kernelILj510ELj1ELj4ELb1EL18RadixRankAlgorithm1ExEvPKT4_Pijj.num_agpr, 0
	.set _Z11rank_kernelILj510ELj1ELj4ELb1EL18RadixRankAlgorithm1ExEvPKT4_Pijj.numbered_sgpr, 10
	.set _Z11rank_kernelILj510ELj1ELj4ELb1EL18RadixRankAlgorithm1ExEvPKT4_Pijj.num_named_barrier, 0
	.set _Z11rank_kernelILj510ELj1ELj4ELb1EL18RadixRankAlgorithm1ExEvPKT4_Pijj.private_seg_size, 0
	.set _Z11rank_kernelILj510ELj1ELj4ELb1EL18RadixRankAlgorithm1ExEvPKT4_Pijj.uses_vcc, 1
	.set _Z11rank_kernelILj510ELj1ELj4ELb1EL18RadixRankAlgorithm1ExEvPKT4_Pijj.uses_flat_scratch, 0
	.set _Z11rank_kernelILj510ELj1ELj4ELb1EL18RadixRankAlgorithm1ExEvPKT4_Pijj.has_dyn_sized_stack, 0
	.set _Z11rank_kernelILj510ELj1ELj4ELb1EL18RadixRankAlgorithm1ExEvPKT4_Pijj.has_recursion, 0
	.set _Z11rank_kernelILj510ELj1ELj4ELb1EL18RadixRankAlgorithm1ExEvPKT4_Pijj.has_indirect_call, 0
	.section	.AMDGPU.csdata,"",@progbits
; Kernel info:
; codeLenInByte = 904
; TotalNumSgprs: 14
; NumVgprs: 19
; ScratchSize: 0
; MemoryBound: 0
; FloatMode: 240
; IeeeMode: 1
; LDSByteSize: 16352 bytes/workgroup (compile time only)
; SGPRBlocks: 8
; VGPRBlocks: 7
; NumSGPRsForWavesPerEU: 65
; NumVGPRsForWavesPerEU: 29
; Occupancy: 8
; WaveLimiterHint : 0
; COMPUTE_PGM_RSRC2:SCRATCH_EN: 0
; COMPUTE_PGM_RSRC2:USER_SGPR: 6
; COMPUTE_PGM_RSRC2:TRAP_HANDLER: 0
; COMPUTE_PGM_RSRC2:TGID_X_EN: 1
; COMPUTE_PGM_RSRC2:TGID_Y_EN: 0
; COMPUTE_PGM_RSRC2:TGID_Z_EN: 0
; COMPUTE_PGM_RSRC2:TIDIG_COMP_CNT: 0
	.section	.text._Z11rank_kernelILj37ELj1ELj4ELb0EL18RadixRankAlgorithm1EfEvPKT4_Pijj,"axG",@progbits,_Z11rank_kernelILj37ELj1ELj4ELb0EL18RadixRankAlgorithm1EfEvPKT4_Pijj,comdat
	.protected	_Z11rank_kernelILj37ELj1ELj4ELb0EL18RadixRankAlgorithm1EfEvPKT4_Pijj ; -- Begin function _Z11rank_kernelILj37ELj1ELj4ELb0EL18RadixRankAlgorithm1EfEvPKT4_Pijj
	.globl	_Z11rank_kernelILj37ELj1ELj4ELb0EL18RadixRankAlgorithm1EfEvPKT4_Pijj
	.p2align	8
	.type	_Z11rank_kernelILj37ELj1ELj4ELb0EL18RadixRankAlgorithm1EfEvPKT4_Pijj,@function
_Z11rank_kernelILj37ELj1ELj4ELb0EL18RadixRankAlgorithm1EfEvPKT4_Pijj: ; @_Z11rank_kernelILj37ELj1ELj4ELb0EL18RadixRankAlgorithm1EfEvPKT4_Pijj
; %bb.0:
	s_load_dwordx4 s[0:3], s[4:5], 0x0
	s_mul_i32 s6, s6, 37
	s_mov_b32 s7, 0
	s_lshl_b64 s[6:7], s[6:7], 2
	v_lshlrev_b32_e32 v9, 2, v0
	s_waitcnt lgkmcnt(0)
	s_add_u32 s0, s0, s6
	s_addc_u32 s1, s1, s7
	global_load_dword v1, v9, s[0:1]
	s_movk_i32 s0, 0x128
	v_mov_b32_e32 v2, 0
	v_cmp_gt_u32_e32 vcc, s0, v0
	s_and_saveexec_b64 s[0:1], vcc
	s_cbranch_execz .LBB43_9
; %bb.1:
	s_movk_i32 s8, 0x103
	v_cmp_gt_u32_e32 vcc, s8, v0
	ds_write_b32 v9, v2
	s_and_b64 exec, exec, vcc
	s_cbranch_execz .LBB43_9
; %bb.2:
	s_movk_i32 s8, 0xde
	v_mov_b32_e32 v2, 0
	v_cmp_gt_u32_e32 vcc, s8, v0
	ds_write_b32 v9, v2 offset:148
	s_and_b64 exec, exec, vcc
	s_cbranch_execz .LBB43_9
; %bb.3:
	s_movk_i32 s8, 0xb9
	v_cmp_gt_u32_e32 vcc, s8, v0
	ds_write_b32 v9, v2 offset:296
	s_and_b64 exec, exec, vcc
	s_cbranch_execz .LBB43_9
; %bb.4:
	s_movk_i32 s8, 0x94
	v_mov_b32_e32 v2, 0
	v_cmp_gt_u32_e32 vcc, s8, v0
	ds_write_b32 v9, v2 offset:444
	s_and_b64 exec, exec, vcc
	s_cbranch_execz .LBB43_9
; %bb.5:
	s_movk_i32 s8, 0x6f
	v_cmp_gt_u32_e32 vcc, s8, v0
	ds_write_b32 v9, v2 offset:592
	s_and_b64 exec, exec, vcc
	s_cbranch_execz .LBB43_9
; %bb.6:
	s_movk_i32 s8, 0x4a
	v_mov_b32_e32 v2, 0
	v_cmp_gt_u32_e32 vcc, s8, v0
	ds_write_b32 v9, v2 offset:740
	s_and_b64 exec, exec, vcc
	s_cbranch_execz .LBB43_9
; %bb.7:
	v_cmp_gt_u32_e32 vcc, 37, v0
	ds_write_b32 v9, v2 offset:888
	s_and_b64 exec, exec, vcc
; %bb.8:
	v_mov_b32_e32 v2, 0
	ds_write_b32 v9, v2 offset:1036
.LBB43_9:
	s_or_b64 exec, exec, s[0:1]
	s_load_dwordx2 s[0:1], s[4:5], 0x10
	v_bfrev_b32_e32 v2, 1
	s_waitcnt vmcnt(0)
	v_cmp_lt_i32_e32 vcc, -1, v1
	v_cndmask_b32_e32 v3, -1, v2, vcc
	v_xor_b32_e32 v1, v3, v1
	s_brev_b32 s4, -2
	s_waitcnt lgkmcnt(0)
	s_and_b32 s1, s1, 31
	s_and_b32 s0, s0, 31
	v_cmp_ne_u32_e32 vcc, s4, v1
	s_add_i32 s0, s0, s1
	v_cndmask_b32_e32 v1, v2, v1, vcc
	s_sub_i32 s0, 32, s0
	v_lshlrev_b32_e32 v1, s0, v1
	s_sub_i32 s0, 32, s1
	s_cmp_lg_u32 s1, 0
	v_lshrrev_b32_e32 v1, s0, v1
	s_cselect_b64 vcc, -1, 0
	v_cndmask_b32_e32 v1, 0, v1, vcc
	v_and_b32_e32 v2, 7, v1
	v_lshrrev_b32_e32 v1, 2, v1
	v_mad_u32_u24 v2, v2, 37, v0
	v_and_b32_e32 v1, 0x3ffffffe, v1
	v_lshl_add_u32 v10, v2, 2, v1
	ds_read_u16 v11, v10
	v_lshlrev_b32_e32 v12, 5, v0
	s_waitcnt lgkmcnt(0)
	v_add_u16_e32 v1, 1, v11
	ds_write_b16 v10, v1
	s_waitcnt lgkmcnt(0)
	; wave barrier
	ds_read_b128 v[5:8], v12
	ds_read_b128 v[1:4], v12 offset:16
	s_waitcnt lgkmcnt(1)
	v_add_u32_e32 v13, v6, v5
	v_add3_u32 v13, v13, v7, v8
	s_waitcnt lgkmcnt(0)
	v_add3_u32 v13, v13, v1, v2
	v_add3_u32 v13, v13, v3, v4
	v_mbcnt_lo_u32_b32 v4, -1, 0
	v_mbcnt_hi_u32_b32 v4, -1, v4
	v_and_b32_e32 v14, 15, v4
	v_mov_b32_dpp v15, v13 row_shr:1 row_mask:0xf bank_mask:0xf
	v_cmp_ne_u32_e32 vcc, 0, v14
	v_cndmask_b32_e32 v15, 0, v15, vcc
	v_add_u32_e32 v13, v15, v13
	v_cmp_lt_u32_e32 vcc, 1, v14
	s_nop 0
	v_mov_b32_dpp v15, v13 row_shr:2 row_mask:0xf bank_mask:0xf
	v_cndmask_b32_e32 v15, 0, v15, vcc
	v_add_u32_e32 v13, v13, v15
	v_cmp_lt_u32_e32 vcc, 3, v14
	s_nop 0
	v_mov_b32_dpp v15, v13 row_shr:4 row_mask:0xf bank_mask:0xf
	;; [unrolled: 5-line block ×3, first 2 shown]
	v_cndmask_b32_e32 v14, 0, v15, vcc
	v_add_u32_e32 v13, v13, v14
	v_bfe_i32 v15, v4, 4, 1
	v_cmp_lt_u32_e32 vcc, 31, v4
	v_mov_b32_dpp v14, v13 row_bcast:15 row_mask:0xf bank_mask:0xf
	v_and_b32_e32 v14, v15, v14
	v_add_u32_e32 v13, v13, v14
	s_nop 1
	v_mov_b32_dpp v14, v13 row_bcast:31 row_mask:0xf bank_mask:0xf
	v_cndmask_b32_e32 v14, 0, v14, vcc
	v_add_u32_e32 v13, v13, v14
	v_cmp_eq_u32_e32 vcc, 36, v0
	s_and_saveexec_b64 s[0:1], vcc
; %bb.10:
	v_mov_b32_e32 v0, 0
	ds_write_b32 v0, v13 offset:1184
; %bb.11:
	s_or_b64 exec, exec, s[0:1]
	v_subrev_co_u32_e32 v0, vcc, 1, v4
	v_and_b32_e32 v14, 64, v4
	v_cmp_lt_i32_e64 s[0:1], v0, v14
	v_cndmask_b32_e64 v0, v0, v4, s[0:1]
	v_lshlrev_b32_e32 v0, 2, v0
	ds_bpermute_b32 v0, v0, v13
	v_mov_b32_e32 v4, 0
	s_waitcnt lgkmcnt(0)
	; wave barrier
	ds_read_b32 v4, v4 offset:1184
	v_cndmask_b32_e64 v0, v0, 0, vcc
	s_add_u32 s0, s2, s6
	s_addc_u32 s1, s3, s7
	s_waitcnt lgkmcnt(0)
	v_lshl_add_u32 v4, v4, 16, v0
	v_add_u32_e32 v5, v4, v5
	v_add_u32_e32 v6, v5, v6
	;; [unrolled: 1-line block ×7, first 2 shown]
	ds_write_b128 v12, v[4:7]
	ds_write_b128 v12, v[0:3] offset:16
	s_waitcnt lgkmcnt(0)
	; wave barrier
	ds_read_u16 v0, v10
	s_waitcnt lgkmcnt(0)
	v_add_u32_sdwa v0, v0, v11 dst_sel:DWORD dst_unused:UNUSED_PAD src0_sel:DWORD src1_sel:WORD_0
	global_store_dword v9, v0, s[0:1]
	s_endpgm
	.section	.rodata,"a",@progbits
	.p2align	6, 0x0
	.amdhsa_kernel _Z11rank_kernelILj37ELj1ELj4ELb0EL18RadixRankAlgorithm1EfEvPKT4_Pijj
		.amdhsa_group_segment_fixed_size 1200
		.amdhsa_private_segment_fixed_size 0
		.amdhsa_kernarg_size 24
		.amdhsa_user_sgpr_count 6
		.amdhsa_user_sgpr_private_segment_buffer 1
		.amdhsa_user_sgpr_dispatch_ptr 0
		.amdhsa_user_sgpr_queue_ptr 0
		.amdhsa_user_sgpr_kernarg_segment_ptr 1
		.amdhsa_user_sgpr_dispatch_id 0
		.amdhsa_user_sgpr_flat_scratch_init 0
		.amdhsa_user_sgpr_private_segment_size 0
		.amdhsa_uses_dynamic_stack 0
		.amdhsa_system_sgpr_private_segment_wavefront_offset 0
		.amdhsa_system_sgpr_workgroup_id_x 1
		.amdhsa_system_sgpr_workgroup_id_y 0
		.amdhsa_system_sgpr_workgroup_id_z 0
		.amdhsa_system_sgpr_workgroup_info 0
		.amdhsa_system_vgpr_workitem_id 0
		.amdhsa_next_free_vgpr 16
		.amdhsa_next_free_sgpr 9
		.amdhsa_reserve_vcc 1
		.amdhsa_reserve_flat_scratch 0
		.amdhsa_float_round_mode_32 0
		.amdhsa_float_round_mode_16_64 0
		.amdhsa_float_denorm_mode_32 3
		.amdhsa_float_denorm_mode_16_64 3
		.amdhsa_dx10_clamp 1
		.amdhsa_ieee_mode 1
		.amdhsa_fp16_overflow 0
		.amdhsa_exception_fp_ieee_invalid_op 0
		.amdhsa_exception_fp_denorm_src 0
		.amdhsa_exception_fp_ieee_div_zero 0
		.amdhsa_exception_fp_ieee_overflow 0
		.amdhsa_exception_fp_ieee_underflow 0
		.amdhsa_exception_fp_ieee_inexact 0
		.amdhsa_exception_int_div_zero 0
	.end_amdhsa_kernel
	.section	.text._Z11rank_kernelILj37ELj1ELj4ELb0EL18RadixRankAlgorithm1EfEvPKT4_Pijj,"axG",@progbits,_Z11rank_kernelILj37ELj1ELj4ELb0EL18RadixRankAlgorithm1EfEvPKT4_Pijj,comdat
.Lfunc_end43:
	.size	_Z11rank_kernelILj37ELj1ELj4ELb0EL18RadixRankAlgorithm1EfEvPKT4_Pijj, .Lfunc_end43-_Z11rank_kernelILj37ELj1ELj4ELb0EL18RadixRankAlgorithm1EfEvPKT4_Pijj
                                        ; -- End function
	.set _Z11rank_kernelILj37ELj1ELj4ELb0EL18RadixRankAlgorithm1EfEvPKT4_Pijj.num_vgpr, 16
	.set _Z11rank_kernelILj37ELj1ELj4ELb0EL18RadixRankAlgorithm1EfEvPKT4_Pijj.num_agpr, 0
	.set _Z11rank_kernelILj37ELj1ELj4ELb0EL18RadixRankAlgorithm1EfEvPKT4_Pijj.numbered_sgpr, 9
	.set _Z11rank_kernelILj37ELj1ELj4ELb0EL18RadixRankAlgorithm1EfEvPKT4_Pijj.num_named_barrier, 0
	.set _Z11rank_kernelILj37ELj1ELj4ELb0EL18RadixRankAlgorithm1EfEvPKT4_Pijj.private_seg_size, 0
	.set _Z11rank_kernelILj37ELj1ELj4ELb0EL18RadixRankAlgorithm1EfEvPKT4_Pijj.uses_vcc, 1
	.set _Z11rank_kernelILj37ELj1ELj4ELb0EL18RadixRankAlgorithm1EfEvPKT4_Pijj.uses_flat_scratch, 0
	.set _Z11rank_kernelILj37ELj1ELj4ELb0EL18RadixRankAlgorithm1EfEvPKT4_Pijj.has_dyn_sized_stack, 0
	.set _Z11rank_kernelILj37ELj1ELj4ELb0EL18RadixRankAlgorithm1EfEvPKT4_Pijj.has_recursion, 0
	.set _Z11rank_kernelILj37ELj1ELj4ELb0EL18RadixRankAlgorithm1EfEvPKT4_Pijj.has_indirect_call, 0
	.section	.AMDGPU.csdata,"",@progbits
; Kernel info:
; codeLenInByte = 796
; TotalNumSgprs: 13
; NumVgprs: 16
; ScratchSize: 0
; MemoryBound: 0
; FloatMode: 240
; IeeeMode: 1
; LDSByteSize: 1200 bytes/workgroup (compile time only)
; SGPRBlocks: 1
; VGPRBlocks: 3
; NumSGPRsForWavesPerEU: 13
; NumVGPRsForWavesPerEU: 16
; Occupancy: 10
; WaveLimiterHint : 0
; COMPUTE_PGM_RSRC2:SCRATCH_EN: 0
; COMPUTE_PGM_RSRC2:USER_SGPR: 6
; COMPUTE_PGM_RSRC2:TRAP_HANDLER: 0
; COMPUTE_PGM_RSRC2:TGID_X_EN: 1
; COMPUTE_PGM_RSRC2:TGID_Y_EN: 0
; COMPUTE_PGM_RSRC2:TGID_Z_EN: 0
; COMPUTE_PGM_RSRC2:TIDIG_COMP_CNT: 0
	.section	.text._Z11rank_kernelILj65ELj1ELj4ELb0EL18RadixRankAlgorithm1EdEvPKT4_Pijj,"axG",@progbits,_Z11rank_kernelILj65ELj1ELj4ELb0EL18RadixRankAlgorithm1EdEvPKT4_Pijj,comdat
	.protected	_Z11rank_kernelILj65ELj1ELj4ELb0EL18RadixRankAlgorithm1EdEvPKT4_Pijj ; -- Begin function _Z11rank_kernelILj65ELj1ELj4ELb0EL18RadixRankAlgorithm1EdEvPKT4_Pijj
	.globl	_Z11rank_kernelILj65ELj1ELj4ELb0EL18RadixRankAlgorithm1EdEvPKT4_Pijj
	.p2align	8
	.type	_Z11rank_kernelILj65ELj1ELj4ELb0EL18RadixRankAlgorithm1EdEvPKT4_Pijj,@function
_Z11rank_kernelILj65ELj1ELj4ELb0EL18RadixRankAlgorithm1EdEvPKT4_Pijj: ; @_Z11rank_kernelILj65ELj1ELj4ELb0EL18RadixRankAlgorithm1EdEvPKT4_Pijj
; %bb.0:
	s_load_dwordx4 s[0:3], s[4:5], 0x0
	s_mulk_i32 s6, 0x41
	s_mov_b32 s7, 0
	s_lshl_b64 s[8:9], s[6:7], 3
	v_lshlrev_b32_e32 v1, 3, v0
	s_waitcnt lgkmcnt(0)
	s_add_u32 s0, s0, s8
	s_addc_u32 s1, s1, s9
	global_load_dwordx2 v[1:2], v1, s[0:1]
	s_movk_i32 s0, 0x208
	v_mov_b32_e32 v3, 0
	v_cmp_gt_u32_e32 vcc, s0, v0
	v_lshlrev_b32_e32 v9, 2, v0
	s_and_saveexec_b64 s[0:1], vcc
	s_cbranch_execz .LBB44_9
; %bb.1:
	s_movk_i32 s8, 0x1c7
	v_cmp_gt_u32_e32 vcc, s8, v0
	ds_write_b32 v9, v3
	s_and_b64 exec, exec, vcc
	s_cbranch_execz .LBB44_9
; %bb.2:
	s_movk_i32 s8, 0x186
	v_mov_b32_e32 v3, 0
	v_cmp_gt_u32_e32 vcc, s8, v0
	ds_write_b32 v9, v3 offset:260
	s_and_b64 exec, exec, vcc
	s_cbranch_execz .LBB44_9
; %bb.3:
	s_movk_i32 s8, 0x145
	v_cmp_gt_u32_e32 vcc, s8, v0
	ds_write_b32 v9, v3 offset:520
	s_and_b64 exec, exec, vcc
	s_cbranch_execz .LBB44_9
; %bb.4:
	s_movk_i32 s8, 0x104
	v_mov_b32_e32 v3, 0
	v_cmp_gt_u32_e32 vcc, s8, v0
	ds_write_b32 v9, v3 offset:780
	s_and_b64 exec, exec, vcc
	s_cbranch_execz .LBB44_9
; %bb.5:
	s_movk_i32 s8, 0xc3
	v_cmp_gt_u32_e32 vcc, s8, v0
	ds_write_b32 v9, v3 offset:1040
	;; [unrolled: 13-line block ×3, first 2 shown]
	s_and_b64 exec, exec, vcc
; %bb.8:
	v_mov_b32_e32 v3, 0
	ds_write_b32 v9, v3 offset:1820
.LBB44_9:
	s_or_b64 exec, exec, s[0:1]
	s_load_dwordx2 s[0:1], s[4:5], 0x10
	s_waitcnt lgkmcnt(0)
	s_and_b32 s1, s1, 63
	s_cmp_lg_u32 s1, 0
	s_cbranch_scc0 .LBB44_11
; %bb.10:
	s_waitcnt vmcnt(0)
	v_cmp_lt_i64_e32 vcc, -1, v[1:2]
	v_bfrev_b32_e32 v3, 1
	s_mov_b32 s4, -1
	v_cndmask_b32_e32 v4, -1, v3, vcc
	v_ashrrev_i32_e32 v5, 31, v2
	s_brev_b32 s5, -2
	v_xor_b32_e32 v2, v4, v2
	v_xor_b32_e32 v1, v5, v1
	v_cmp_ne_u64_e32 vcc, s[4:5], v[1:2]
	s_and_b32 s0, s0, 63
	s_add_i32 s0, s0, s1
	v_cndmask_b32_e32 v2, v3, v2, vcc
	v_cndmask_b32_e32 v1, 0, v1, vcc
	s_sub_i32 s0, 64, s0
	v_lshlrev_b64 v[1:2], s0, v[1:2]
	s_sub_i32 s0, 64, s1
	v_lshrrev_b64 v[1:2], s0, v[1:2]
	s_branch .LBB44_12
.LBB44_11:
	s_waitcnt vmcnt(0)
	v_mov_b32_e32 v1, 0
.LBB44_12:
	v_and_b32_e32 v2, 7, v1
	s_movk_i32 s0, 0x41
	v_lshrrev_b32_e32 v1, 2, v1
	v_mad_u32_u24 v2, v2, s0, v0
	v_and_b32_e32 v1, 0x3ffffffe, v1
	v_lshl_add_u32 v10, v2, 2, v1
	ds_read_u16 v11, v10
	v_lshlrev_b32_e32 v12, 5, v0
	v_cmp_gt_u32_e64 s[0:1], 64, v0
	s_waitcnt lgkmcnt(0)
	v_add_u16_e32 v1, 1, v11
	ds_write_b16 v10, v1
	s_waitcnt lgkmcnt(0)
	s_barrier
	ds_read_b128 v[5:8], v12
	ds_read_b128 v[1:4], v12 offset:16
	s_waitcnt lgkmcnt(1)
	v_add_u32_e32 v13, v6, v5
	v_add3_u32 v13, v13, v7, v8
	s_waitcnt lgkmcnt(0)
	v_add3_u32 v13, v13, v1, v2
	v_add3_u32 v13, v13, v3, v4
	v_mbcnt_lo_u32_b32 v4, -1, 0
	v_mbcnt_hi_u32_b32 v4, -1, v4
	v_and_b32_e32 v14, 15, v4
	v_mov_b32_dpp v15, v13 row_shr:1 row_mask:0xf bank_mask:0xf
	v_cmp_ne_u32_e32 vcc, 0, v14
	v_cndmask_b32_e32 v15, 0, v15, vcc
	v_add_u32_e32 v13, v15, v13
	v_cmp_lt_u32_e32 vcc, 1, v14
	s_nop 0
	v_mov_b32_dpp v15, v13 row_shr:2 row_mask:0xf bank_mask:0xf
	v_cndmask_b32_e32 v15, 0, v15, vcc
	v_add_u32_e32 v13, v13, v15
	v_cmp_lt_u32_e32 vcc, 3, v14
	s_nop 0
	v_mov_b32_dpp v15, v13 row_shr:4 row_mask:0xf bank_mask:0xf
	;; [unrolled: 5-line block ×3, first 2 shown]
	v_cndmask_b32_e32 v14, 0, v15, vcc
	v_add_u32_e32 v13, v13, v14
	v_bfe_i32 v15, v4, 4, 1
	v_cmp_lt_u32_e32 vcc, 31, v4
	v_mov_b32_dpp v14, v13 row_bcast:15 row_mask:0xf bank_mask:0xf
	v_and_b32_e32 v14, v15, v14
	v_add_u32_e32 v13, v13, v14
	v_cndmask_b32_e64 v15, 64, 63, s[0:1]
	v_cmp_eq_u32_e64 s[0:1], v0, v15
	v_mov_b32_dpp v14, v13 row_bcast:31 row_mask:0xf bank_mask:0xf
	v_cndmask_b32_e32 v14, 0, v14, vcc
	v_add_u32_e32 v13, v13, v14
	v_lshrrev_b32_e32 v14, 6, v0
	v_cmp_lt_u32_e32 vcc, 63, v0
	v_lshlrev_b32_e32 v14, 2, v14
	s_and_saveexec_b64 s[4:5], s[0:1]
	s_xor_b64 s[0:1], exec, s[4:5]
; %bb.13:
	ds_write_b32 v14, v13 offset:2080
; %bb.14:
	s_or_b64 exec, exec, s[0:1]
	v_cmp_gt_u32_e64 s[0:1], 2, v0
	s_waitcnt lgkmcnt(0)
	s_barrier
	s_and_saveexec_b64 s[4:5], s[0:1]
	s_cbranch_execz .LBB44_16
; %bb.15:
	s_movk_i32 s0, 0xffe4
	v_mad_i32_i24 v0, v0, s0, v12
	ds_read_b32 v15, v0 offset:2080
	v_bfe_i32 v16, v4, 0, 1
	s_waitcnt lgkmcnt(0)
	v_mov_b32_dpp v17, v15 row_shr:1 row_mask:0xf bank_mask:0xf
	v_and_b32_e32 v16, v16, v17
	v_add_u32_e32 v15, v16, v15
	ds_write_b32 v0, v15 offset:2080
.LBB44_16:
	s_or_b64 exec, exec, s[4:5]
	v_mov_b32_e32 v0, 0
	v_mov_b32_e32 v15, 0
	s_waitcnt lgkmcnt(0)
	s_barrier
	s_and_saveexec_b64 s[0:1], vcc
; %bb.17:
	ds_read_b32 v15, v14 offset:2076
; %bb.18:
	s_or_b64 exec, exec, s[0:1]
	v_subrev_co_u32_e32 v14, vcc, 1, v4
	v_and_b32_e32 v16, 64, v4
	v_cmp_lt_i32_e64 s[0:1], v14, v16
	v_cndmask_b32_e64 v4, v14, v4, s[0:1]
	s_waitcnt lgkmcnt(0)
	v_add_u32_e32 v13, v15, v13
	v_lshlrev_b32_e32 v4, 2, v4
	ds_bpermute_b32 v4, v4, v13
	ds_read_b32 v0, v0 offset:2084
	s_lshl_b64 s[0:1], s[6:7], 2
	s_add_u32 s0, s2, s0
	s_addc_u32 s1, s3, s1
	s_waitcnt lgkmcnt(1)
	v_cndmask_b32_e32 v4, v4, v15, vcc
	s_waitcnt lgkmcnt(0)
	v_lshl_add_u32 v4, v0, 16, v4
	v_add_u32_e32 v5, v4, v5
	v_add_u32_e32 v6, v5, v6
	;; [unrolled: 1-line block ×7, first 2 shown]
	ds_write_b128 v12, v[4:7]
	ds_write_b128 v12, v[0:3] offset:16
	s_waitcnt lgkmcnt(0)
	s_barrier
	ds_read_u16 v0, v10
	s_waitcnt lgkmcnt(0)
	v_add_u32_sdwa v0, v0, v11 dst_sel:DWORD dst_unused:UNUSED_PAD src0_sel:DWORD src1_sel:WORD_0
	global_store_dword v9, v0, s[0:1]
	s_endpgm
	.section	.rodata,"a",@progbits
	.p2align	6, 0x0
	.amdhsa_kernel _Z11rank_kernelILj65ELj1ELj4ELb0EL18RadixRankAlgorithm1EdEvPKT4_Pijj
		.amdhsa_group_segment_fixed_size 2096
		.amdhsa_private_segment_fixed_size 0
		.amdhsa_kernarg_size 24
		.amdhsa_user_sgpr_count 6
		.amdhsa_user_sgpr_private_segment_buffer 1
		.amdhsa_user_sgpr_dispatch_ptr 0
		.amdhsa_user_sgpr_queue_ptr 0
		.amdhsa_user_sgpr_kernarg_segment_ptr 1
		.amdhsa_user_sgpr_dispatch_id 0
		.amdhsa_user_sgpr_flat_scratch_init 0
		.amdhsa_user_sgpr_private_segment_size 0
		.amdhsa_uses_dynamic_stack 0
		.amdhsa_system_sgpr_private_segment_wavefront_offset 0
		.amdhsa_system_sgpr_workgroup_id_x 1
		.amdhsa_system_sgpr_workgroup_id_y 0
		.amdhsa_system_sgpr_workgroup_id_z 0
		.amdhsa_system_sgpr_workgroup_info 0
		.amdhsa_system_vgpr_workitem_id 0
		.amdhsa_next_free_vgpr 29
		.amdhsa_next_free_sgpr 61
		.amdhsa_reserve_vcc 1
		.amdhsa_reserve_flat_scratch 0
		.amdhsa_float_round_mode_32 0
		.amdhsa_float_round_mode_16_64 0
		.amdhsa_float_denorm_mode_32 3
		.amdhsa_float_denorm_mode_16_64 3
		.amdhsa_dx10_clamp 1
		.amdhsa_ieee_mode 1
		.amdhsa_fp16_overflow 0
		.amdhsa_exception_fp_ieee_invalid_op 0
		.amdhsa_exception_fp_denorm_src 0
		.amdhsa_exception_fp_ieee_div_zero 0
		.amdhsa_exception_fp_ieee_overflow 0
		.amdhsa_exception_fp_ieee_underflow 0
		.amdhsa_exception_fp_ieee_inexact 0
		.amdhsa_exception_int_div_zero 0
	.end_amdhsa_kernel
	.section	.text._Z11rank_kernelILj65ELj1ELj4ELb0EL18RadixRankAlgorithm1EdEvPKT4_Pijj,"axG",@progbits,_Z11rank_kernelILj65ELj1ELj4ELb0EL18RadixRankAlgorithm1EdEvPKT4_Pijj,comdat
.Lfunc_end44:
	.size	_Z11rank_kernelILj65ELj1ELj4ELb0EL18RadixRankAlgorithm1EdEvPKT4_Pijj, .Lfunc_end44-_Z11rank_kernelILj65ELj1ELj4ELb0EL18RadixRankAlgorithm1EdEvPKT4_Pijj
                                        ; -- End function
	.set _Z11rank_kernelILj65ELj1ELj4ELb0EL18RadixRankAlgorithm1EdEvPKT4_Pijj.num_vgpr, 18
	.set _Z11rank_kernelILj65ELj1ELj4ELb0EL18RadixRankAlgorithm1EdEvPKT4_Pijj.num_agpr, 0
	.set _Z11rank_kernelILj65ELj1ELj4ELb0EL18RadixRankAlgorithm1EdEvPKT4_Pijj.numbered_sgpr, 10
	.set _Z11rank_kernelILj65ELj1ELj4ELb0EL18RadixRankAlgorithm1EdEvPKT4_Pijj.num_named_barrier, 0
	.set _Z11rank_kernelILj65ELj1ELj4ELb0EL18RadixRankAlgorithm1EdEvPKT4_Pijj.private_seg_size, 0
	.set _Z11rank_kernelILj65ELj1ELj4ELb0EL18RadixRankAlgorithm1EdEvPKT4_Pijj.uses_vcc, 1
	.set _Z11rank_kernelILj65ELj1ELj4ELb0EL18RadixRankAlgorithm1EdEvPKT4_Pijj.uses_flat_scratch, 0
	.set _Z11rank_kernelILj65ELj1ELj4ELb0EL18RadixRankAlgorithm1EdEvPKT4_Pijj.has_dyn_sized_stack, 0
	.set _Z11rank_kernelILj65ELj1ELj4ELb0EL18RadixRankAlgorithm1EdEvPKT4_Pijj.has_recursion, 0
	.set _Z11rank_kernelILj65ELj1ELj4ELb0EL18RadixRankAlgorithm1EdEvPKT4_Pijj.has_indirect_call, 0
	.section	.AMDGPU.csdata,"",@progbits
; Kernel info:
; codeLenInByte = 996
; TotalNumSgprs: 14
; NumVgprs: 18
; ScratchSize: 0
; MemoryBound: 0
; FloatMode: 240
; IeeeMode: 1
; LDSByteSize: 2096 bytes/workgroup (compile time only)
; SGPRBlocks: 8
; VGPRBlocks: 7
; NumSGPRsForWavesPerEU: 65
; NumVGPRsForWavesPerEU: 29
; Occupancy: 8
; WaveLimiterHint : 0
; COMPUTE_PGM_RSRC2:SCRATCH_EN: 0
; COMPUTE_PGM_RSRC2:USER_SGPR: 6
; COMPUTE_PGM_RSRC2:TRAP_HANDLER: 0
; COMPUTE_PGM_RSRC2:TGID_X_EN: 1
; COMPUTE_PGM_RSRC2:TGID_Y_EN: 0
; COMPUTE_PGM_RSRC2:TGID_Z_EN: 0
; COMPUTE_PGM_RSRC2:TIDIG_COMP_CNT: 0
	.section	.text._Z11rank_kernelILj512ELj1ELj4ELb1EL18RadixRankAlgorithm1EtEvPKT4_Pijj,"axG",@progbits,_Z11rank_kernelILj512ELj1ELj4ELb1EL18RadixRankAlgorithm1EtEvPKT4_Pijj,comdat
	.protected	_Z11rank_kernelILj512ELj1ELj4ELb1EL18RadixRankAlgorithm1EtEvPKT4_Pijj ; -- Begin function _Z11rank_kernelILj512ELj1ELj4ELb1EL18RadixRankAlgorithm1EtEvPKT4_Pijj
	.globl	_Z11rank_kernelILj512ELj1ELj4ELb1EL18RadixRankAlgorithm1EtEvPKT4_Pijj
	.p2align	8
	.type	_Z11rank_kernelILj512ELj1ELj4ELb1EL18RadixRankAlgorithm1EtEvPKT4_Pijj,@function
_Z11rank_kernelILj512ELj1ELj4ELb1EL18RadixRankAlgorithm1EtEvPKT4_Pijj: ; @_Z11rank_kernelILj512ELj1ELj4ELb1EL18RadixRankAlgorithm1EtEvPKT4_Pijj
; %bb.0:
	s_load_dwordx4 s[0:3], s[4:5], 0x0
	s_lshl_b32 s6, s6, 9
	s_mov_b32 s7, 0
	s_lshl_b64 s[8:9], s[6:7], 1
	v_lshlrev_b32_e32 v1, 1, v0
	s_waitcnt lgkmcnt(0)
	s_add_u32 s0, s0, s8
	s_addc_u32 s1, s1, s9
	global_load_ushort v1, v1, s[0:1]
	v_or_b32_e32 v3, 0xc00, v0
	s_movk_i32 s8, 0xe00
	v_mov_b32_e32 v2, 0
	v_lshlrev_b32_e32 v9, 2, v0
	v_cmp_gt_u32_e32 vcc, s8, v3
	ds_write2st64_b32 v9, v2, v2 offset1:8
	ds_write2st64_b32 v9, v2, v2 offset0:16 offset1:24
	ds_write2st64_b32 v9, v2, v2 offset0:32 offset1:40
	ds_write_b32 v9, v2 offset:12288
	s_and_saveexec_b64 s[0:1], vcc
; %bb.1:
	ds_write_b32 v9, v2 offset:14336
; %bb.2:
	s_or_b64 exec, exec, s[0:1]
	s_load_dwordx2 s[0:1], s[4:5], 0x10
	v_mad_u32_u24 v12, v0, 28, v9
	s_waitcnt lgkmcnt(0)
	s_and_b32 s1, s1, 31
	s_and_b32 s0, s0, 31
	s_add_i32 s0, s0, s1
	s_sub_i32 s0, 32, s0
	s_sub_i32 s4, 32, s1
	s_waitcnt vmcnt(0)
	v_lshlrev_b32_sdwa v1, s0, v1 dst_sel:DWORD dst_unused:UNUSED_PAD src0_sel:DWORD src1_sel:WORD_0
	s_cmp_lg_u32 s1, 0
	v_bfe_u32 v1, v1, s4, 16
	v_xor_b32_e32 v1, 15, v1
	s_cselect_b64 vcc, -1, 0
	v_cndmask_b32_e32 v1, 15, v1, vcc
	v_lshlrev_b32_e32 v2, 9, v1
	v_lshrrev_b32_e32 v1, 2, v1
	v_and_or_b32 v2, v2, s8, v0
	v_and_b32_e32 v1, 0x3ffe, v1
	v_lshl_add_u32 v10, v2, 2, v1
	ds_read_u16 v11, v10
	s_waitcnt lgkmcnt(0)
	v_add_u16_e32 v1, 1, v11
	ds_write_b16 v10, v1
	s_waitcnt lgkmcnt(0)
	s_barrier
	ds_read_b128 v[5:8], v12
	ds_read_b128 v[1:4], v12 offset:16
	s_waitcnt lgkmcnt(1)
	v_add_u32_e32 v13, v6, v5
	v_add3_u32 v13, v13, v7, v8
	s_waitcnt lgkmcnt(0)
	v_add3_u32 v13, v13, v1, v2
	v_add3_u32 v13, v13, v3, v4
	v_mbcnt_lo_u32_b32 v4, -1, 0
	v_mbcnt_hi_u32_b32 v4, -1, v4
	v_and_b32_e32 v14, 15, v4
	v_mov_b32_dpp v15, v13 row_shr:1 row_mask:0xf bank_mask:0xf
	v_cmp_ne_u32_e32 vcc, 0, v14
	v_cndmask_b32_e32 v15, 0, v15, vcc
	v_add_u32_e32 v13, v15, v13
	v_cmp_lt_u32_e32 vcc, 1, v14
	s_nop 0
	v_mov_b32_dpp v15, v13 row_shr:2 row_mask:0xf bank_mask:0xf
	v_cndmask_b32_e32 v15, 0, v15, vcc
	v_add_u32_e32 v13, v13, v15
	v_cmp_lt_u32_e32 vcc, 3, v14
	s_nop 0
	v_mov_b32_dpp v15, v13 row_shr:4 row_mask:0xf bank_mask:0xf
	v_cndmask_b32_e32 v15, 0, v15, vcc
	v_add_u32_e32 v13, v13, v15
	v_cmp_lt_u32_e32 vcc, 7, v14
	s_nop 0
	v_mov_b32_dpp v15, v13 row_shr:8 row_mask:0xf bank_mask:0xf
	v_cndmask_b32_e32 v14, 0, v15, vcc
	v_add_u32_e32 v13, v13, v14
	v_bfe_i32 v15, v4, 4, 1
	v_cmp_lt_u32_e32 vcc, 31, v4
	v_mov_b32_dpp v14, v13 row_bcast:15 row_mask:0xf bank_mask:0xf
	v_and_b32_e32 v14, v15, v14
	v_add_u32_e32 v13, v13, v14
	v_or_b32_e32 v15, 63, v0
	s_nop 0
	v_mov_b32_dpp v14, v13 row_bcast:31 row_mask:0xf bank_mask:0xf
	v_cndmask_b32_e32 v14, 0, v14, vcc
	v_add_u32_e32 v13, v13, v14
	v_lshrrev_b32_e32 v14, 6, v0
	v_cmp_eq_u32_e32 vcc, v0, v15
	v_lshlrev_b32_e32 v14, 2, v14
	s_and_saveexec_b64 s[0:1], vcc
; %bb.3:
	ds_write_b32 v14, v13 offset:16384
; %bb.4:
	s_or_b64 exec, exec, s[0:1]
	v_cmp_gt_u32_e32 vcc, 8, v0
	s_waitcnt lgkmcnt(0)
	s_barrier
	s_and_saveexec_b64 s[0:1], vcc
	s_cbranch_execz .LBB45_6
; %bb.5:
	s_movk_i32 s4, 0xffe4
	v_mad_i32_i24 v15, v0, s4, v12
	ds_read_b32 v16, v15 offset:16384
	v_and_b32_e32 v17, 7, v4
	v_cmp_ne_u32_e32 vcc, 0, v17
	s_waitcnt lgkmcnt(0)
	v_mov_b32_dpp v18, v16 row_shr:1 row_mask:0xf bank_mask:0xf
	v_cndmask_b32_e32 v18, 0, v18, vcc
	v_add_u32_e32 v16, v18, v16
	v_cmp_lt_u32_e32 vcc, 1, v17
	s_nop 0
	v_mov_b32_dpp v18, v16 row_shr:2 row_mask:0xf bank_mask:0xf
	v_cndmask_b32_e32 v18, 0, v18, vcc
	v_add_u32_e32 v16, v16, v18
	v_cmp_lt_u32_e32 vcc, 3, v17
	s_nop 0
	v_mov_b32_dpp v18, v16 row_shr:4 row_mask:0xf bank_mask:0xf
	v_cndmask_b32_e32 v17, 0, v18, vcc
	v_add_u32_e32 v16, v16, v17
	ds_write_b32 v15, v16 offset:16384
.LBB45_6:
	s_or_b64 exec, exec, s[0:1]
	v_cmp_lt_u32_e32 vcc, 63, v0
	v_mov_b32_e32 v0, 0
	v_mov_b32_e32 v15, 0
	s_waitcnt lgkmcnt(0)
	s_barrier
	s_and_saveexec_b64 s[0:1], vcc
; %bb.7:
	ds_read_b32 v15, v14 offset:16380
; %bb.8:
	s_or_b64 exec, exec, s[0:1]
	v_subrev_co_u32_e32 v14, vcc, 1, v4
	v_and_b32_e32 v16, 64, v4
	v_cmp_lt_i32_e64 s[0:1], v14, v16
	v_cndmask_b32_e64 v4, v14, v4, s[0:1]
	s_waitcnt lgkmcnt(0)
	v_add_u32_e32 v13, v15, v13
	v_lshlrev_b32_e32 v4, 2, v4
	ds_bpermute_b32 v4, v4, v13
	ds_read_b32 v0, v0 offset:16412
	s_lshl_b64 s[0:1], s[6:7], 2
	s_add_u32 s0, s2, s0
	s_addc_u32 s1, s3, s1
	s_waitcnt lgkmcnt(1)
	v_cndmask_b32_e32 v4, v4, v15, vcc
	s_waitcnt lgkmcnt(0)
	v_lshl_add_u32 v4, v0, 16, v4
	v_add_u32_e32 v5, v4, v5
	v_add_u32_e32 v6, v5, v6
	;; [unrolled: 1-line block ×7, first 2 shown]
	ds_write_b128 v12, v[4:7]
	ds_write_b128 v12, v[0:3] offset:16
	s_waitcnt lgkmcnt(0)
	s_barrier
	ds_read_u16 v0, v10
	s_waitcnt lgkmcnt(0)
	v_add_u32_sdwa v0, v0, v11 dst_sel:DWORD dst_unused:UNUSED_PAD src0_sel:DWORD src1_sel:WORD_0
	global_store_dword v9, v0, s[0:1]
	s_endpgm
	.section	.rodata,"a",@progbits
	.p2align	6, 0x0
	.amdhsa_kernel _Z11rank_kernelILj512ELj1ELj4ELb1EL18RadixRankAlgorithm1EtEvPKT4_Pijj
		.amdhsa_group_segment_fixed_size 16416
		.amdhsa_private_segment_fixed_size 0
		.amdhsa_kernarg_size 24
		.amdhsa_user_sgpr_count 6
		.amdhsa_user_sgpr_private_segment_buffer 1
		.amdhsa_user_sgpr_dispatch_ptr 0
		.amdhsa_user_sgpr_queue_ptr 0
		.amdhsa_user_sgpr_kernarg_segment_ptr 1
		.amdhsa_user_sgpr_dispatch_id 0
		.amdhsa_user_sgpr_flat_scratch_init 0
		.amdhsa_user_sgpr_private_segment_size 0
		.amdhsa_uses_dynamic_stack 0
		.amdhsa_system_sgpr_private_segment_wavefront_offset 0
		.amdhsa_system_sgpr_workgroup_id_x 1
		.amdhsa_system_sgpr_workgroup_id_y 0
		.amdhsa_system_sgpr_workgroup_id_z 0
		.amdhsa_system_sgpr_workgroup_info 0
		.amdhsa_system_vgpr_workitem_id 0
		.amdhsa_next_free_vgpr 37
		.amdhsa_next_free_sgpr 93
		.amdhsa_reserve_vcc 1
		.amdhsa_reserve_flat_scratch 0
		.amdhsa_float_round_mode_32 0
		.amdhsa_float_round_mode_16_64 0
		.amdhsa_float_denorm_mode_32 3
		.amdhsa_float_denorm_mode_16_64 3
		.amdhsa_dx10_clamp 1
		.amdhsa_ieee_mode 1
		.amdhsa_fp16_overflow 0
		.amdhsa_exception_fp_ieee_invalid_op 0
		.amdhsa_exception_fp_denorm_src 0
		.amdhsa_exception_fp_ieee_div_zero 0
		.amdhsa_exception_fp_ieee_overflow 0
		.amdhsa_exception_fp_ieee_underflow 0
		.amdhsa_exception_fp_ieee_inexact 0
		.amdhsa_exception_int_div_zero 0
	.end_amdhsa_kernel
	.section	.text._Z11rank_kernelILj512ELj1ELj4ELb1EL18RadixRankAlgorithm1EtEvPKT4_Pijj,"axG",@progbits,_Z11rank_kernelILj512ELj1ELj4ELb1EL18RadixRankAlgorithm1EtEvPKT4_Pijj,comdat
.Lfunc_end45:
	.size	_Z11rank_kernelILj512ELj1ELj4ELb1EL18RadixRankAlgorithm1EtEvPKT4_Pijj, .Lfunc_end45-_Z11rank_kernelILj512ELj1ELj4ELb1EL18RadixRankAlgorithm1EtEvPKT4_Pijj
                                        ; -- End function
	.set _Z11rank_kernelILj512ELj1ELj4ELb1EL18RadixRankAlgorithm1EtEvPKT4_Pijj.num_vgpr, 19
	.set _Z11rank_kernelILj512ELj1ELj4ELb1EL18RadixRankAlgorithm1EtEvPKT4_Pijj.num_agpr, 0
	.set _Z11rank_kernelILj512ELj1ELj4ELb1EL18RadixRankAlgorithm1EtEvPKT4_Pijj.numbered_sgpr, 10
	.set _Z11rank_kernelILj512ELj1ELj4ELb1EL18RadixRankAlgorithm1EtEvPKT4_Pijj.num_named_barrier, 0
	.set _Z11rank_kernelILj512ELj1ELj4ELb1EL18RadixRankAlgorithm1EtEvPKT4_Pijj.private_seg_size, 0
	.set _Z11rank_kernelILj512ELj1ELj4ELb1EL18RadixRankAlgorithm1EtEvPKT4_Pijj.uses_vcc, 1
	.set _Z11rank_kernelILj512ELj1ELj4ELb1EL18RadixRankAlgorithm1EtEvPKT4_Pijj.uses_flat_scratch, 0
	.set _Z11rank_kernelILj512ELj1ELj4ELb1EL18RadixRankAlgorithm1EtEvPKT4_Pijj.has_dyn_sized_stack, 0
	.set _Z11rank_kernelILj512ELj1ELj4ELb1EL18RadixRankAlgorithm1EtEvPKT4_Pijj.has_recursion, 0
	.set _Z11rank_kernelILj512ELj1ELj4ELb1EL18RadixRankAlgorithm1EtEvPKT4_Pijj.has_indirect_call, 0
	.section	.AMDGPU.csdata,"",@progbits
; Kernel info:
; codeLenInByte = 832
; TotalNumSgprs: 14
; NumVgprs: 19
; ScratchSize: 0
; MemoryBound: 0
; FloatMode: 240
; IeeeMode: 1
; LDSByteSize: 16416 bytes/workgroup (compile time only)
; SGPRBlocks: 12
; VGPRBlocks: 9
; NumSGPRsForWavesPerEU: 97
; NumVGPRsForWavesPerEU: 37
; Occupancy: 6
; WaveLimiterHint : 0
; COMPUTE_PGM_RSRC2:SCRATCH_EN: 0
; COMPUTE_PGM_RSRC2:USER_SGPR: 6
; COMPUTE_PGM_RSRC2:TRAP_HANDLER: 0
; COMPUTE_PGM_RSRC2:TGID_X_EN: 1
; COMPUTE_PGM_RSRC2:TGID_Y_EN: 0
; COMPUTE_PGM_RSRC2:TGID_Z_EN: 0
; COMPUTE_PGM_RSRC2:TIDIG_COMP_CNT: 0
	.section	.text._Z11rank_kernelILj256ELj1ELj4ELb0EL18RadixRankAlgorithm1EfEvPKT4_Pijj,"axG",@progbits,_Z11rank_kernelILj256ELj1ELj4ELb0EL18RadixRankAlgorithm1EfEvPKT4_Pijj,comdat
	.protected	_Z11rank_kernelILj256ELj1ELj4ELb0EL18RadixRankAlgorithm1EfEvPKT4_Pijj ; -- Begin function _Z11rank_kernelILj256ELj1ELj4ELb0EL18RadixRankAlgorithm1EfEvPKT4_Pijj
	.globl	_Z11rank_kernelILj256ELj1ELj4ELb0EL18RadixRankAlgorithm1EfEvPKT4_Pijj
	.p2align	8
	.type	_Z11rank_kernelILj256ELj1ELj4ELb0EL18RadixRankAlgorithm1EfEvPKT4_Pijj,@function
_Z11rank_kernelILj256ELj1ELj4ELb0EL18RadixRankAlgorithm1EfEvPKT4_Pijj: ; @_Z11rank_kernelILj256ELj1ELj4ELb0EL18RadixRankAlgorithm1EfEvPKT4_Pijj
; %bb.0:
	s_load_dwordx4 s[0:3], s[4:5], 0x0
	s_lshl_b32 s6, s6, 8
	s_mov_b32 s7, 0
	s_lshl_b64 s[6:7], s[6:7], 2
	v_lshlrev_b32_e32 v9, 2, v0
	s_waitcnt lgkmcnt(0)
	s_add_u32 s0, s0, s6
	s_addc_u32 s1, s1, s7
	global_load_dword v1, v9, s[0:1]
	v_or_b32_e32 v3, 0x400, v0
	s_movk_i32 s8, 0x700
	v_mov_b32_e32 v2, 0
	v_cmp_gt_u32_e32 vcc, s8, v3
	ds_write2st64_b32 v9, v2, v2 offset1:4
	ds_write2st64_b32 v9, v2, v2 offset0:8 offset1:12
	ds_write_b32 v9, v2 offset:4096
	s_and_saveexec_b64 s[0:1], vcc
	s_cbranch_execz .LBB46_4
; %bb.1:
	s_movk_i32 s9, 0x200
	v_cmp_gt_u32_e32 vcc, s9, v0
	ds_write_b32 v9, v2 offset:5120
	s_and_b64 exec, exec, vcc
	s_cbranch_execz .LBB46_4
; %bb.2:
	s_movk_i32 s9, 0x100
	v_mov_b32_e32 v2, 0
	v_cmp_gt_u32_e32 vcc, s9, v0
	ds_write_b32 v9, v2 offset:6144
	s_and_b64 exec, exec, vcc
; %bb.3:
	ds_write_b32 v9, v2 offset:7168
.LBB46_4:
	s_or_b64 exec, exec, s[0:1]
	s_load_dwordx2 s[0:1], s[4:5], 0x10
	v_bfrev_b32_e32 v2, 1
	s_waitcnt vmcnt(0)
	v_cmp_lt_i32_e32 vcc, -1, v1
	v_cndmask_b32_e32 v3, -1, v2, vcc
	v_xor_b32_e32 v1, v3, v1
	s_brev_b32 s4, -2
	s_waitcnt lgkmcnt(0)
	s_and_b32 s1, s1, 31
	s_and_b32 s0, s0, 31
	v_cmp_ne_u32_e32 vcc, s4, v1
	s_add_i32 s0, s0, s1
	v_cndmask_b32_e32 v1, v2, v1, vcc
	s_sub_i32 s0, 32, s0
	v_lshlrev_b32_e32 v1, s0, v1
	s_sub_i32 s0, 32, s1
	s_cmp_lg_u32 s1, 0
	v_lshrrev_b32_e32 v1, s0, v1
	s_cselect_b64 vcc, -1, 0
	v_cndmask_b32_e32 v1, 0, v1, vcc
	v_lshlrev_b32_e32 v2, 8, v1
	v_lshrrev_b32_e32 v1, 2, v1
	v_and_or_b32 v2, v2, s8, v0
	v_and_b32_e32 v1, 0x3ffffffe, v1
	v_lshl_add_u32 v10, v2, 2, v1
	ds_read_u16 v11, v10
	v_mad_u32_u24 v12, v0, 28, v9
	s_waitcnt lgkmcnt(0)
	v_add_u16_e32 v1, 1, v11
	ds_write_b16 v10, v1
	s_waitcnt lgkmcnt(0)
	s_barrier
	ds_read_b128 v[5:8], v12
	ds_read_b128 v[1:4], v12 offset:16
	s_waitcnt lgkmcnt(1)
	v_add_u32_e32 v13, v6, v5
	v_add3_u32 v13, v13, v7, v8
	s_waitcnt lgkmcnt(0)
	v_add3_u32 v13, v13, v1, v2
	v_add3_u32 v13, v13, v3, v4
	v_mbcnt_lo_u32_b32 v4, -1, 0
	v_mbcnt_hi_u32_b32 v4, -1, v4
	v_and_b32_e32 v14, 15, v4
	v_mov_b32_dpp v15, v13 row_shr:1 row_mask:0xf bank_mask:0xf
	v_cmp_ne_u32_e32 vcc, 0, v14
	v_cndmask_b32_e32 v15, 0, v15, vcc
	v_add_u32_e32 v13, v15, v13
	v_cmp_lt_u32_e32 vcc, 1, v14
	s_nop 0
	v_mov_b32_dpp v15, v13 row_shr:2 row_mask:0xf bank_mask:0xf
	v_cndmask_b32_e32 v15, 0, v15, vcc
	v_add_u32_e32 v13, v13, v15
	v_cmp_lt_u32_e32 vcc, 3, v14
	s_nop 0
	v_mov_b32_dpp v15, v13 row_shr:4 row_mask:0xf bank_mask:0xf
	;; [unrolled: 5-line block ×3, first 2 shown]
	v_cndmask_b32_e32 v14, 0, v15, vcc
	v_add_u32_e32 v13, v13, v14
	v_bfe_i32 v15, v4, 4, 1
	v_cmp_lt_u32_e32 vcc, 31, v4
	v_mov_b32_dpp v14, v13 row_bcast:15 row_mask:0xf bank_mask:0xf
	v_and_b32_e32 v14, v15, v14
	v_add_u32_e32 v13, v13, v14
	v_or_b32_e32 v15, 63, v0
	s_nop 0
	v_mov_b32_dpp v14, v13 row_bcast:31 row_mask:0xf bank_mask:0xf
	v_cndmask_b32_e32 v14, 0, v14, vcc
	v_add_u32_e32 v13, v13, v14
	v_lshrrev_b32_e32 v14, 6, v0
	v_cmp_eq_u32_e32 vcc, v0, v15
	v_lshlrev_b32_e32 v14, 2, v14
	s_and_saveexec_b64 s[0:1], vcc
; %bb.5:
	ds_write_b32 v14, v13 offset:8192
; %bb.6:
	s_or_b64 exec, exec, s[0:1]
	v_cmp_gt_u32_e32 vcc, 4, v0
	s_waitcnt lgkmcnt(0)
	s_barrier
	s_and_saveexec_b64 s[0:1], vcc
	s_cbranch_execz .LBB46_8
; %bb.7:
	s_movk_i32 s4, 0xffe4
	v_mad_i32_i24 v15, v0, s4, v12
	ds_read_b32 v16, v15 offset:8192
	v_and_b32_e32 v17, 3, v4
	v_cmp_ne_u32_e32 vcc, 0, v17
	s_waitcnt lgkmcnt(0)
	v_mov_b32_dpp v18, v16 row_shr:1 row_mask:0xf bank_mask:0xf
	v_cndmask_b32_e32 v18, 0, v18, vcc
	v_add_u32_e32 v16, v18, v16
	v_cmp_lt_u32_e32 vcc, 1, v17
	s_nop 0
	v_mov_b32_dpp v18, v16 row_shr:2 row_mask:0xf bank_mask:0xf
	v_cndmask_b32_e32 v17, 0, v18, vcc
	v_add_u32_e32 v16, v16, v17
	ds_write_b32 v15, v16 offset:8192
.LBB46_8:
	s_or_b64 exec, exec, s[0:1]
	v_cmp_lt_u32_e32 vcc, 63, v0
	v_mov_b32_e32 v0, 0
	v_mov_b32_e32 v15, 0
	s_waitcnt lgkmcnt(0)
	s_barrier
	s_and_saveexec_b64 s[0:1], vcc
; %bb.9:
	ds_read_b32 v15, v14 offset:8188
; %bb.10:
	s_or_b64 exec, exec, s[0:1]
	v_subrev_co_u32_e32 v14, vcc, 1, v4
	v_and_b32_e32 v16, 64, v4
	v_cmp_lt_i32_e64 s[0:1], v14, v16
	v_cndmask_b32_e64 v4, v14, v4, s[0:1]
	s_waitcnt lgkmcnt(0)
	v_add_u32_e32 v13, v15, v13
	v_lshlrev_b32_e32 v4, 2, v4
	ds_bpermute_b32 v4, v4, v13
	ds_read_b32 v0, v0 offset:8204
	s_add_u32 s0, s2, s6
	s_addc_u32 s1, s3, s7
	s_waitcnt lgkmcnt(1)
	v_cndmask_b32_e32 v4, v4, v15, vcc
	s_waitcnt lgkmcnt(0)
	v_lshl_add_u32 v4, v0, 16, v4
	v_add_u32_e32 v5, v4, v5
	v_add_u32_e32 v6, v5, v6
	;; [unrolled: 1-line block ×7, first 2 shown]
	ds_write_b128 v12, v[4:7]
	ds_write_b128 v12, v[0:3] offset:16
	s_waitcnt lgkmcnt(0)
	s_barrier
	ds_read_u16 v0, v10
	s_waitcnt lgkmcnt(0)
	v_add_u32_sdwa v0, v0, v11 dst_sel:DWORD dst_unused:UNUSED_PAD src0_sel:DWORD src1_sel:WORD_0
	global_store_dword v9, v0, s[0:1]
	s_endpgm
	.section	.rodata,"a",@progbits
	.p2align	6, 0x0
	.amdhsa_kernel _Z11rank_kernelILj256ELj1ELj4ELb0EL18RadixRankAlgorithm1EfEvPKT4_Pijj
		.amdhsa_group_segment_fixed_size 8208
		.amdhsa_private_segment_fixed_size 0
		.amdhsa_kernarg_size 24
		.amdhsa_user_sgpr_count 6
		.amdhsa_user_sgpr_private_segment_buffer 1
		.amdhsa_user_sgpr_dispatch_ptr 0
		.amdhsa_user_sgpr_queue_ptr 0
		.amdhsa_user_sgpr_kernarg_segment_ptr 1
		.amdhsa_user_sgpr_dispatch_id 0
		.amdhsa_user_sgpr_flat_scratch_init 0
		.amdhsa_user_sgpr_private_segment_size 0
		.amdhsa_uses_dynamic_stack 0
		.amdhsa_system_sgpr_private_segment_wavefront_offset 0
		.amdhsa_system_sgpr_workgroup_id_x 1
		.amdhsa_system_sgpr_workgroup_id_y 0
		.amdhsa_system_sgpr_workgroup_id_z 0
		.amdhsa_system_sgpr_workgroup_info 0
		.amdhsa_system_vgpr_workitem_id 0
		.amdhsa_next_free_vgpr 33
		.amdhsa_next_free_sgpr 77
		.amdhsa_reserve_vcc 1
		.amdhsa_reserve_flat_scratch 0
		.amdhsa_float_round_mode_32 0
		.amdhsa_float_round_mode_16_64 0
		.amdhsa_float_denorm_mode_32 3
		.amdhsa_float_denorm_mode_16_64 3
		.amdhsa_dx10_clamp 1
		.amdhsa_ieee_mode 1
		.amdhsa_fp16_overflow 0
		.amdhsa_exception_fp_ieee_invalid_op 0
		.amdhsa_exception_fp_denorm_src 0
		.amdhsa_exception_fp_ieee_div_zero 0
		.amdhsa_exception_fp_ieee_overflow 0
		.amdhsa_exception_fp_ieee_underflow 0
		.amdhsa_exception_fp_ieee_inexact 0
		.amdhsa_exception_int_div_zero 0
	.end_amdhsa_kernel
	.section	.text._Z11rank_kernelILj256ELj1ELj4ELb0EL18RadixRankAlgorithm1EfEvPKT4_Pijj,"axG",@progbits,_Z11rank_kernelILj256ELj1ELj4ELb0EL18RadixRankAlgorithm1EfEvPKT4_Pijj,comdat
.Lfunc_end46:
	.size	_Z11rank_kernelILj256ELj1ELj4ELb0EL18RadixRankAlgorithm1EfEvPKT4_Pijj, .Lfunc_end46-_Z11rank_kernelILj256ELj1ELj4ELb0EL18RadixRankAlgorithm1EfEvPKT4_Pijj
                                        ; -- End function
	.set _Z11rank_kernelILj256ELj1ELj4ELb0EL18RadixRankAlgorithm1EfEvPKT4_Pijj.num_vgpr, 19
	.set _Z11rank_kernelILj256ELj1ELj4ELb0EL18RadixRankAlgorithm1EfEvPKT4_Pijj.num_agpr, 0
	.set _Z11rank_kernelILj256ELj1ELj4ELb0EL18RadixRankAlgorithm1EfEvPKT4_Pijj.numbered_sgpr, 10
	.set _Z11rank_kernelILj256ELj1ELj4ELb0EL18RadixRankAlgorithm1EfEvPKT4_Pijj.num_named_barrier, 0
	.set _Z11rank_kernelILj256ELj1ELj4ELb0EL18RadixRankAlgorithm1EfEvPKT4_Pijj.private_seg_size, 0
	.set _Z11rank_kernelILj256ELj1ELj4ELb0EL18RadixRankAlgorithm1EfEvPKT4_Pijj.uses_vcc, 1
	.set _Z11rank_kernelILj256ELj1ELj4ELb0EL18RadixRankAlgorithm1EfEvPKT4_Pijj.uses_flat_scratch, 0
	.set _Z11rank_kernelILj256ELj1ELj4ELb0EL18RadixRankAlgorithm1EfEvPKT4_Pijj.has_dyn_sized_stack, 0
	.set _Z11rank_kernelILj256ELj1ELj4ELb0EL18RadixRankAlgorithm1EfEvPKT4_Pijj.has_recursion, 0
	.set _Z11rank_kernelILj256ELj1ELj4ELb0EL18RadixRankAlgorithm1EfEvPKT4_Pijj.has_indirect_call, 0
	.section	.AMDGPU.csdata,"",@progbits
; Kernel info:
; codeLenInByte = 860
; TotalNumSgprs: 14
; NumVgprs: 19
; ScratchSize: 0
; MemoryBound: 0
; FloatMode: 240
; IeeeMode: 1
; LDSByteSize: 8208 bytes/workgroup (compile time only)
; SGPRBlocks: 10
; VGPRBlocks: 8
; NumSGPRsForWavesPerEU: 81
; NumVGPRsForWavesPerEU: 33
; Occupancy: 7
; WaveLimiterHint : 0
; COMPUTE_PGM_RSRC2:SCRATCH_EN: 0
; COMPUTE_PGM_RSRC2:USER_SGPR: 6
; COMPUTE_PGM_RSRC2:TRAP_HANDLER: 0
; COMPUTE_PGM_RSRC2:TGID_X_EN: 1
; COMPUTE_PGM_RSRC2:TGID_Y_EN: 0
; COMPUTE_PGM_RSRC2:TGID_Z_EN: 0
; COMPUTE_PGM_RSRC2:TIDIG_COMP_CNT: 0
	.section	.text._Z11rank_kernelILj128ELj1ELj4ELb0EL18RadixRankAlgorithm1E12hip_bfloat16EvPKT4_Pijj,"axG",@progbits,_Z11rank_kernelILj128ELj1ELj4ELb0EL18RadixRankAlgorithm1E12hip_bfloat16EvPKT4_Pijj,comdat
	.protected	_Z11rank_kernelILj128ELj1ELj4ELb0EL18RadixRankAlgorithm1E12hip_bfloat16EvPKT4_Pijj ; -- Begin function _Z11rank_kernelILj128ELj1ELj4ELb0EL18RadixRankAlgorithm1E12hip_bfloat16EvPKT4_Pijj
	.globl	_Z11rank_kernelILj128ELj1ELj4ELb0EL18RadixRankAlgorithm1E12hip_bfloat16EvPKT4_Pijj
	.p2align	8
	.type	_Z11rank_kernelILj128ELj1ELj4ELb0EL18RadixRankAlgorithm1E12hip_bfloat16EvPKT4_Pijj,@function
_Z11rank_kernelILj128ELj1ELj4ELb0EL18RadixRankAlgorithm1E12hip_bfloat16EvPKT4_Pijj: ; @_Z11rank_kernelILj128ELj1ELj4ELb0EL18RadixRankAlgorithm1E12hip_bfloat16EvPKT4_Pijj
; %bb.0:
	s_load_dwordx4 s[0:3], s[4:5], 0x0
	s_lshl_b32 s6, s6, 7
	s_mov_b32 s7, 0
	s_lshl_b64 s[8:9], s[6:7], 1
	v_lshlrev_b32_e32 v1, 1, v0
	s_waitcnt lgkmcnt(0)
	s_add_u32 s0, s0, s8
	s_addc_u32 s1, s1, s9
	global_load_ushort v1, v1, s[0:1]
	s_movk_i32 s8, 0x380
	v_mov_b32_e32 v2, 0
	v_lshlrev_b32_e32 v9, 2, v0
	v_cmp_gt_u32_e32 vcc, s8, v0
	ds_write_b32 v9, v2
	s_and_saveexec_b64 s[0:1], vcc
	s_cbranch_execz .LBB47_8
; %bb.1:
	s_movk_i32 s9, 0x300
	v_cmp_gt_u32_e32 vcc, s9, v0
	ds_write_b32 v9, v2 offset:512
	s_and_b64 exec, exec, vcc
	s_cbranch_execz .LBB47_8
; %bb.2:
	s_movk_i32 s9, 0x280
	v_mov_b32_e32 v2, 0
	v_cmp_gt_u32_e32 vcc, s9, v0
	ds_write_b32 v9, v2 offset:1024
	s_and_b64 exec, exec, vcc
	s_cbranch_execz .LBB47_8
; %bb.3:
	s_movk_i32 s9, 0x200
	v_cmp_gt_u32_e32 vcc, s9, v0
	ds_write_b32 v9, v2 offset:1536
	s_and_b64 exec, exec, vcc
	s_cbranch_execz .LBB47_8
; %bb.4:
	s_movk_i32 s9, 0x180
	v_mov_b32_e32 v2, 0
	v_cmp_gt_u32_e32 vcc, s9, v0
	ds_write_b32 v9, v2 offset:2048
	s_and_b64 exec, exec, vcc
	;; [unrolled: 13-line block ×3, first 2 shown]
; %bb.7:
	ds_write_b32 v9, v2 offset:3584
.LBB47_8:
	s_or_b64 exec, exec, s[0:1]
	s_load_dwordx2 s[0:1], s[4:5], 0x10
	v_mov_b32_e32 v2, 0xffff8000
	s_waitcnt vmcnt(0)
	v_cmp_lt_i16_e32 vcc, -1, v1
	v_cndmask_b32_e32 v3, -1, v2, vcc
	v_xor_b32_e32 v1, v3, v1
	s_waitcnt lgkmcnt(0)
	s_and_b32 s1, s1, 31
	s_and_b32 s0, s0, 31
	s_movk_i32 s5, 0x7fff
	s_add_i32 s0, s0, s1
	v_cmp_ne_u16_e32 vcc, s5, v1
	s_sub_i32 s0, 32, s0
	s_sub_i32 s4, 32, s1
	v_cndmask_b32_e32 v1, v2, v1, vcc
	v_lshlrev_b32_sdwa v1, s0, v1 dst_sel:DWORD dst_unused:UNUSED_PAD src0_sel:DWORD src1_sel:WORD_0
	s_cmp_lg_u32 s1, 0
	v_bfe_u32 v1, v1, s4, 16
	s_cselect_b64 vcc, -1, 0
	v_cndmask_b32_e32 v1, 0, v1, vcc
	v_lshlrev_b32_e32 v2, 7, v1
	v_lshrrev_b32_e32 v1, 2, v1
	v_and_or_b32 v2, v2, s8, v0
	v_and_b32_e32 v1, 0x3ffe, v1
	v_lshl_add_u32 v10, v2, 2, v1
	ds_read_u16 v11, v10
	v_mad_u32_u24 v12, v0, 28, v9
	s_waitcnt lgkmcnt(0)
	v_add_u16_e32 v1, 1, v11
	ds_write_b16 v10, v1
	s_waitcnt lgkmcnt(0)
	s_barrier
	ds_read_b128 v[5:8], v12
	ds_read_b128 v[1:4], v12 offset:16
	s_waitcnt lgkmcnt(1)
	v_add_u32_e32 v13, v6, v5
	v_add3_u32 v13, v13, v7, v8
	s_waitcnt lgkmcnt(0)
	v_add3_u32 v13, v13, v1, v2
	v_add3_u32 v13, v13, v3, v4
	v_mbcnt_lo_u32_b32 v4, -1, 0
	v_mbcnt_hi_u32_b32 v4, -1, v4
	v_and_b32_e32 v14, 15, v4
	v_mov_b32_dpp v15, v13 row_shr:1 row_mask:0xf bank_mask:0xf
	v_cmp_ne_u32_e32 vcc, 0, v14
	v_cndmask_b32_e32 v15, 0, v15, vcc
	v_add_u32_e32 v13, v15, v13
	v_cmp_lt_u32_e32 vcc, 1, v14
	s_nop 0
	v_mov_b32_dpp v15, v13 row_shr:2 row_mask:0xf bank_mask:0xf
	v_cndmask_b32_e32 v15, 0, v15, vcc
	v_add_u32_e32 v13, v13, v15
	v_cmp_lt_u32_e32 vcc, 3, v14
	s_nop 0
	v_mov_b32_dpp v15, v13 row_shr:4 row_mask:0xf bank_mask:0xf
	;; [unrolled: 5-line block ×3, first 2 shown]
	v_cndmask_b32_e32 v14, 0, v15, vcc
	v_add_u32_e32 v13, v13, v14
	v_bfe_i32 v15, v4, 4, 1
	v_cmp_lt_u32_e32 vcc, 31, v4
	v_mov_b32_dpp v14, v13 row_bcast:15 row_mask:0xf bank_mask:0xf
	v_and_b32_e32 v14, v15, v14
	v_add_u32_e32 v13, v13, v14
	v_or_b32_e32 v15, 63, v0
	s_nop 0
	v_mov_b32_dpp v14, v13 row_bcast:31 row_mask:0xf bank_mask:0xf
	v_cndmask_b32_e32 v14, 0, v14, vcc
	v_add_u32_e32 v13, v13, v14
	v_lshrrev_b32_e32 v14, 6, v0
	v_cmp_eq_u32_e32 vcc, v0, v15
	v_lshlrev_b32_e32 v14, 2, v14
	s_and_saveexec_b64 s[0:1], vcc
; %bb.9:
	ds_write_b32 v14, v13 offset:4096
; %bb.10:
	s_or_b64 exec, exec, s[0:1]
	v_cmp_gt_u32_e32 vcc, 2, v0
	s_waitcnt lgkmcnt(0)
	s_barrier
	s_and_saveexec_b64 s[0:1], vcc
	s_cbranch_execz .LBB47_12
; %bb.11:
	s_movk_i32 s4, 0xffe4
	v_mad_i32_i24 v15, v0, s4, v12
	ds_read_b32 v16, v15 offset:4096
	v_bfe_i32 v17, v4, 0, 1
	s_waitcnt lgkmcnt(0)
	v_mov_b32_dpp v18, v16 row_shr:1 row_mask:0xf bank_mask:0xf
	v_and_b32_e32 v17, v17, v18
	v_add_u32_e32 v16, v17, v16
	ds_write_b32 v15, v16 offset:4096
.LBB47_12:
	s_or_b64 exec, exec, s[0:1]
	v_cmp_lt_u32_e32 vcc, 63, v0
	v_mov_b32_e32 v0, 0
	v_mov_b32_e32 v15, 0
	s_waitcnt lgkmcnt(0)
	s_barrier
	s_and_saveexec_b64 s[0:1], vcc
; %bb.13:
	ds_read_b32 v15, v14 offset:4092
; %bb.14:
	s_or_b64 exec, exec, s[0:1]
	v_subrev_co_u32_e32 v14, vcc, 1, v4
	v_and_b32_e32 v16, 64, v4
	v_cmp_lt_i32_e64 s[0:1], v14, v16
	v_cndmask_b32_e64 v4, v14, v4, s[0:1]
	s_waitcnt lgkmcnt(0)
	v_add_u32_e32 v13, v15, v13
	v_lshlrev_b32_e32 v4, 2, v4
	ds_bpermute_b32 v4, v4, v13
	ds_read_b32 v0, v0 offset:4100
	s_lshl_b64 s[0:1], s[6:7], 2
	s_add_u32 s0, s2, s0
	s_addc_u32 s1, s3, s1
	s_waitcnt lgkmcnt(1)
	v_cndmask_b32_e32 v4, v4, v15, vcc
	s_waitcnt lgkmcnt(0)
	v_lshl_add_u32 v4, v0, 16, v4
	v_add_u32_e32 v5, v4, v5
	v_add_u32_e32 v6, v5, v6
	;; [unrolled: 1-line block ×7, first 2 shown]
	ds_write_b128 v12, v[4:7]
	ds_write_b128 v12, v[0:3] offset:16
	s_waitcnt lgkmcnt(0)
	s_barrier
	ds_read_u16 v0, v10
	s_waitcnt lgkmcnt(0)
	v_add_u32_sdwa v0, v0, v11 dst_sel:DWORD dst_unused:UNUSED_PAD src0_sel:DWORD src1_sel:WORD_0
	global_store_dword v9, v0, s[0:1]
	s_endpgm
	.section	.rodata,"a",@progbits
	.p2align	6, 0x0
	.amdhsa_kernel _Z11rank_kernelILj128ELj1ELj4ELb0EL18RadixRankAlgorithm1E12hip_bfloat16EvPKT4_Pijj
		.amdhsa_group_segment_fixed_size 4112
		.amdhsa_private_segment_fixed_size 0
		.amdhsa_kernarg_size 24
		.amdhsa_user_sgpr_count 6
		.amdhsa_user_sgpr_private_segment_buffer 1
		.amdhsa_user_sgpr_dispatch_ptr 0
		.amdhsa_user_sgpr_queue_ptr 0
		.amdhsa_user_sgpr_kernarg_segment_ptr 1
		.amdhsa_user_sgpr_dispatch_id 0
		.amdhsa_user_sgpr_flat_scratch_init 0
		.amdhsa_user_sgpr_private_segment_size 0
		.amdhsa_uses_dynamic_stack 0
		.amdhsa_system_sgpr_private_segment_wavefront_offset 0
		.amdhsa_system_sgpr_workgroup_id_x 1
		.amdhsa_system_sgpr_workgroup_id_y 0
		.amdhsa_system_sgpr_workgroup_id_z 0
		.amdhsa_system_sgpr_workgroup_info 0
		.amdhsa_system_vgpr_workitem_id 0
		.amdhsa_next_free_vgpr 29
		.amdhsa_next_free_sgpr 61
		.amdhsa_reserve_vcc 1
		.amdhsa_reserve_flat_scratch 0
		.amdhsa_float_round_mode_32 0
		.amdhsa_float_round_mode_16_64 0
		.amdhsa_float_denorm_mode_32 3
		.amdhsa_float_denorm_mode_16_64 3
		.amdhsa_dx10_clamp 1
		.amdhsa_ieee_mode 1
		.amdhsa_fp16_overflow 0
		.amdhsa_exception_fp_ieee_invalid_op 0
		.amdhsa_exception_fp_denorm_src 0
		.amdhsa_exception_fp_ieee_div_zero 0
		.amdhsa_exception_fp_ieee_overflow 0
		.amdhsa_exception_fp_ieee_underflow 0
		.amdhsa_exception_fp_ieee_inexact 0
		.amdhsa_exception_int_div_zero 0
	.end_amdhsa_kernel
	.section	.text._Z11rank_kernelILj128ELj1ELj4ELb0EL18RadixRankAlgorithm1E12hip_bfloat16EvPKT4_Pijj,"axG",@progbits,_Z11rank_kernelILj128ELj1ELj4ELb0EL18RadixRankAlgorithm1E12hip_bfloat16EvPKT4_Pijj,comdat
.Lfunc_end47:
	.size	_Z11rank_kernelILj128ELj1ELj4ELb0EL18RadixRankAlgorithm1E12hip_bfloat16EvPKT4_Pijj, .Lfunc_end47-_Z11rank_kernelILj128ELj1ELj4ELb0EL18RadixRankAlgorithm1E12hip_bfloat16EvPKT4_Pijj
                                        ; -- End function
	.set _Z11rank_kernelILj128ELj1ELj4ELb0EL18RadixRankAlgorithm1E12hip_bfloat16EvPKT4_Pijj.num_vgpr, 19
	.set _Z11rank_kernelILj128ELj1ELj4ELb0EL18RadixRankAlgorithm1E12hip_bfloat16EvPKT4_Pijj.num_agpr, 0
	.set _Z11rank_kernelILj128ELj1ELj4ELb0EL18RadixRankAlgorithm1E12hip_bfloat16EvPKT4_Pijj.numbered_sgpr, 10
	.set _Z11rank_kernelILj128ELj1ELj4ELb0EL18RadixRankAlgorithm1E12hip_bfloat16EvPKT4_Pijj.num_named_barrier, 0
	.set _Z11rank_kernelILj128ELj1ELj4ELb0EL18RadixRankAlgorithm1E12hip_bfloat16EvPKT4_Pijj.private_seg_size, 0
	.set _Z11rank_kernelILj128ELj1ELj4ELb0EL18RadixRankAlgorithm1E12hip_bfloat16EvPKT4_Pijj.uses_vcc, 1
	.set _Z11rank_kernelILj128ELj1ELj4ELb0EL18RadixRankAlgorithm1E12hip_bfloat16EvPKT4_Pijj.uses_flat_scratch, 0
	.set _Z11rank_kernelILj128ELj1ELj4ELb0EL18RadixRankAlgorithm1E12hip_bfloat16EvPKT4_Pijj.has_dyn_sized_stack, 0
	.set _Z11rank_kernelILj128ELj1ELj4ELb0EL18RadixRankAlgorithm1E12hip_bfloat16EvPKT4_Pijj.has_recursion, 0
	.set _Z11rank_kernelILj128ELj1ELj4ELb0EL18RadixRankAlgorithm1E12hip_bfloat16EvPKT4_Pijj.has_indirect_call, 0
	.section	.AMDGPU.csdata,"",@progbits
; Kernel info:
; codeLenInByte = 936
; TotalNumSgprs: 14
; NumVgprs: 19
; ScratchSize: 0
; MemoryBound: 0
; FloatMode: 240
; IeeeMode: 1
; LDSByteSize: 4112 bytes/workgroup (compile time only)
; SGPRBlocks: 8
; VGPRBlocks: 7
; NumSGPRsForWavesPerEU: 65
; NumVGPRsForWavesPerEU: 29
; Occupancy: 8
; WaveLimiterHint : 0
; COMPUTE_PGM_RSRC2:SCRATCH_EN: 0
; COMPUTE_PGM_RSRC2:USER_SGPR: 6
; COMPUTE_PGM_RSRC2:TRAP_HANDLER: 0
; COMPUTE_PGM_RSRC2:TGID_X_EN: 1
; COMPUTE_PGM_RSRC2:TGID_Y_EN: 0
; COMPUTE_PGM_RSRC2:TGID_Z_EN: 0
; COMPUTE_PGM_RSRC2:TIDIG_COMP_CNT: 0
	.section	.text._Z11rank_kernelILj128ELj1ELj4ELb0EL18RadixRankAlgorithm1E6__halfEvPKT4_Pijj,"axG",@progbits,_Z11rank_kernelILj128ELj1ELj4ELb0EL18RadixRankAlgorithm1E6__halfEvPKT4_Pijj,comdat
	.protected	_Z11rank_kernelILj128ELj1ELj4ELb0EL18RadixRankAlgorithm1E6__halfEvPKT4_Pijj ; -- Begin function _Z11rank_kernelILj128ELj1ELj4ELb0EL18RadixRankAlgorithm1E6__halfEvPKT4_Pijj
	.globl	_Z11rank_kernelILj128ELj1ELj4ELb0EL18RadixRankAlgorithm1E6__halfEvPKT4_Pijj
	.p2align	8
	.type	_Z11rank_kernelILj128ELj1ELj4ELb0EL18RadixRankAlgorithm1E6__halfEvPKT4_Pijj,@function
_Z11rank_kernelILj128ELj1ELj4ELb0EL18RadixRankAlgorithm1E6__halfEvPKT4_Pijj: ; @_Z11rank_kernelILj128ELj1ELj4ELb0EL18RadixRankAlgorithm1E6__halfEvPKT4_Pijj
; %bb.0:
	s_load_dwordx4 s[0:3], s[4:5], 0x0
	s_lshl_b32 s6, s6, 7
	s_mov_b32 s7, 0
	s_lshl_b64 s[8:9], s[6:7], 1
	v_lshlrev_b32_e32 v1, 1, v0
	s_waitcnt lgkmcnt(0)
	s_add_u32 s0, s0, s8
	s_addc_u32 s1, s1, s9
	global_load_ushort v1, v1, s[0:1]
	s_movk_i32 s8, 0x380
	v_mov_b32_e32 v2, 0
	v_lshlrev_b32_e32 v9, 2, v0
	v_cmp_gt_u32_e32 vcc, s8, v0
	ds_write_b32 v9, v2
	s_and_saveexec_b64 s[0:1], vcc
	s_cbranch_execz .LBB48_8
; %bb.1:
	s_movk_i32 s9, 0x300
	v_cmp_gt_u32_e32 vcc, s9, v0
	ds_write_b32 v9, v2 offset:512
	s_and_b64 exec, exec, vcc
	s_cbranch_execz .LBB48_8
; %bb.2:
	s_movk_i32 s9, 0x280
	v_mov_b32_e32 v2, 0
	v_cmp_gt_u32_e32 vcc, s9, v0
	ds_write_b32 v9, v2 offset:1024
	s_and_b64 exec, exec, vcc
	s_cbranch_execz .LBB48_8
; %bb.3:
	s_movk_i32 s9, 0x200
	v_cmp_gt_u32_e32 vcc, s9, v0
	ds_write_b32 v9, v2 offset:1536
	s_and_b64 exec, exec, vcc
	s_cbranch_execz .LBB48_8
; %bb.4:
	s_movk_i32 s9, 0x180
	v_mov_b32_e32 v2, 0
	v_cmp_gt_u32_e32 vcc, s9, v0
	ds_write_b32 v9, v2 offset:2048
	s_and_b64 exec, exec, vcc
	;; [unrolled: 13-line block ×3, first 2 shown]
; %bb.7:
	ds_write_b32 v9, v2 offset:3584
.LBB48_8:
	s_or_b64 exec, exec, s[0:1]
	s_load_dwordx2 s[0:1], s[4:5], 0x10
	v_mov_b32_e32 v2, 0xffff8000
	s_waitcnt vmcnt(0)
	v_cmp_lt_i16_e32 vcc, -1, v1
	v_cndmask_b32_e32 v3, -1, v2, vcc
	v_xor_b32_e32 v1, v3, v1
	s_waitcnt lgkmcnt(0)
	s_and_b32 s1, s1, 31
	s_and_b32 s0, s0, 31
	s_movk_i32 s5, 0x7fff
	s_add_i32 s0, s0, s1
	v_cmp_ne_u16_e32 vcc, s5, v1
	s_sub_i32 s0, 32, s0
	s_sub_i32 s4, 32, s1
	v_cndmask_b32_e32 v1, v2, v1, vcc
	v_lshlrev_b32_sdwa v1, s0, v1 dst_sel:DWORD dst_unused:UNUSED_PAD src0_sel:DWORD src1_sel:WORD_0
	s_cmp_lg_u32 s1, 0
	v_bfe_u32 v1, v1, s4, 16
	s_cselect_b64 vcc, -1, 0
	v_cndmask_b32_e32 v1, 0, v1, vcc
	v_lshlrev_b32_e32 v2, 7, v1
	v_lshrrev_b32_e32 v1, 2, v1
	v_and_or_b32 v2, v2, s8, v0
	v_and_b32_e32 v1, 0x3ffe, v1
	v_lshl_add_u32 v10, v2, 2, v1
	ds_read_u16 v11, v10
	v_mad_u32_u24 v12, v0, 28, v9
	s_waitcnt lgkmcnt(0)
	v_add_u16_e32 v1, 1, v11
	ds_write_b16 v10, v1
	s_waitcnt lgkmcnt(0)
	s_barrier
	ds_read_b128 v[5:8], v12
	ds_read_b128 v[1:4], v12 offset:16
	s_waitcnt lgkmcnt(1)
	v_add_u32_e32 v13, v6, v5
	v_add3_u32 v13, v13, v7, v8
	s_waitcnt lgkmcnt(0)
	v_add3_u32 v13, v13, v1, v2
	v_add3_u32 v13, v13, v3, v4
	v_mbcnt_lo_u32_b32 v4, -1, 0
	v_mbcnt_hi_u32_b32 v4, -1, v4
	v_and_b32_e32 v14, 15, v4
	v_mov_b32_dpp v15, v13 row_shr:1 row_mask:0xf bank_mask:0xf
	v_cmp_ne_u32_e32 vcc, 0, v14
	v_cndmask_b32_e32 v15, 0, v15, vcc
	v_add_u32_e32 v13, v15, v13
	v_cmp_lt_u32_e32 vcc, 1, v14
	s_nop 0
	v_mov_b32_dpp v15, v13 row_shr:2 row_mask:0xf bank_mask:0xf
	v_cndmask_b32_e32 v15, 0, v15, vcc
	v_add_u32_e32 v13, v13, v15
	v_cmp_lt_u32_e32 vcc, 3, v14
	s_nop 0
	v_mov_b32_dpp v15, v13 row_shr:4 row_mask:0xf bank_mask:0xf
	;; [unrolled: 5-line block ×3, first 2 shown]
	v_cndmask_b32_e32 v14, 0, v15, vcc
	v_add_u32_e32 v13, v13, v14
	v_bfe_i32 v15, v4, 4, 1
	v_cmp_lt_u32_e32 vcc, 31, v4
	v_mov_b32_dpp v14, v13 row_bcast:15 row_mask:0xf bank_mask:0xf
	v_and_b32_e32 v14, v15, v14
	v_add_u32_e32 v13, v13, v14
	v_or_b32_e32 v15, 63, v0
	s_nop 0
	v_mov_b32_dpp v14, v13 row_bcast:31 row_mask:0xf bank_mask:0xf
	v_cndmask_b32_e32 v14, 0, v14, vcc
	v_add_u32_e32 v13, v13, v14
	v_lshrrev_b32_e32 v14, 6, v0
	v_cmp_eq_u32_e32 vcc, v0, v15
	v_lshlrev_b32_e32 v14, 2, v14
	s_and_saveexec_b64 s[0:1], vcc
; %bb.9:
	ds_write_b32 v14, v13 offset:4096
; %bb.10:
	s_or_b64 exec, exec, s[0:1]
	v_cmp_gt_u32_e32 vcc, 2, v0
	s_waitcnt lgkmcnt(0)
	s_barrier
	s_and_saveexec_b64 s[0:1], vcc
	s_cbranch_execz .LBB48_12
; %bb.11:
	s_movk_i32 s4, 0xffe4
	v_mad_i32_i24 v15, v0, s4, v12
	ds_read_b32 v16, v15 offset:4096
	v_bfe_i32 v17, v4, 0, 1
	s_waitcnt lgkmcnt(0)
	v_mov_b32_dpp v18, v16 row_shr:1 row_mask:0xf bank_mask:0xf
	v_and_b32_e32 v17, v17, v18
	v_add_u32_e32 v16, v17, v16
	ds_write_b32 v15, v16 offset:4096
.LBB48_12:
	s_or_b64 exec, exec, s[0:1]
	v_cmp_lt_u32_e32 vcc, 63, v0
	v_mov_b32_e32 v0, 0
	v_mov_b32_e32 v15, 0
	s_waitcnt lgkmcnt(0)
	s_barrier
	s_and_saveexec_b64 s[0:1], vcc
; %bb.13:
	ds_read_b32 v15, v14 offset:4092
; %bb.14:
	s_or_b64 exec, exec, s[0:1]
	v_subrev_co_u32_e32 v14, vcc, 1, v4
	v_and_b32_e32 v16, 64, v4
	v_cmp_lt_i32_e64 s[0:1], v14, v16
	v_cndmask_b32_e64 v4, v14, v4, s[0:1]
	s_waitcnt lgkmcnt(0)
	v_add_u32_e32 v13, v15, v13
	v_lshlrev_b32_e32 v4, 2, v4
	ds_bpermute_b32 v4, v4, v13
	ds_read_b32 v0, v0 offset:4100
	s_lshl_b64 s[0:1], s[6:7], 2
	s_add_u32 s0, s2, s0
	s_addc_u32 s1, s3, s1
	s_waitcnt lgkmcnt(1)
	v_cndmask_b32_e32 v4, v4, v15, vcc
	s_waitcnt lgkmcnt(0)
	v_lshl_add_u32 v4, v0, 16, v4
	v_add_u32_e32 v5, v4, v5
	v_add_u32_e32 v6, v5, v6
	;; [unrolled: 1-line block ×7, first 2 shown]
	ds_write_b128 v12, v[4:7]
	ds_write_b128 v12, v[0:3] offset:16
	s_waitcnt lgkmcnt(0)
	s_barrier
	ds_read_u16 v0, v10
	s_waitcnt lgkmcnt(0)
	v_add_u32_sdwa v0, v0, v11 dst_sel:DWORD dst_unused:UNUSED_PAD src0_sel:DWORD src1_sel:WORD_0
	global_store_dword v9, v0, s[0:1]
	s_endpgm
	.section	.rodata,"a",@progbits
	.p2align	6, 0x0
	.amdhsa_kernel _Z11rank_kernelILj128ELj1ELj4ELb0EL18RadixRankAlgorithm1E6__halfEvPKT4_Pijj
		.amdhsa_group_segment_fixed_size 4112
		.amdhsa_private_segment_fixed_size 0
		.amdhsa_kernarg_size 24
		.amdhsa_user_sgpr_count 6
		.amdhsa_user_sgpr_private_segment_buffer 1
		.amdhsa_user_sgpr_dispatch_ptr 0
		.amdhsa_user_sgpr_queue_ptr 0
		.amdhsa_user_sgpr_kernarg_segment_ptr 1
		.amdhsa_user_sgpr_dispatch_id 0
		.amdhsa_user_sgpr_flat_scratch_init 0
		.amdhsa_user_sgpr_private_segment_size 0
		.amdhsa_uses_dynamic_stack 0
		.amdhsa_system_sgpr_private_segment_wavefront_offset 0
		.amdhsa_system_sgpr_workgroup_id_x 1
		.amdhsa_system_sgpr_workgroup_id_y 0
		.amdhsa_system_sgpr_workgroup_id_z 0
		.amdhsa_system_sgpr_workgroup_info 0
		.amdhsa_system_vgpr_workitem_id 0
		.amdhsa_next_free_vgpr 29
		.amdhsa_next_free_sgpr 61
		.amdhsa_reserve_vcc 1
		.amdhsa_reserve_flat_scratch 0
		.amdhsa_float_round_mode_32 0
		.amdhsa_float_round_mode_16_64 0
		.amdhsa_float_denorm_mode_32 3
		.amdhsa_float_denorm_mode_16_64 3
		.amdhsa_dx10_clamp 1
		.amdhsa_ieee_mode 1
		.amdhsa_fp16_overflow 0
		.amdhsa_exception_fp_ieee_invalid_op 0
		.amdhsa_exception_fp_denorm_src 0
		.amdhsa_exception_fp_ieee_div_zero 0
		.amdhsa_exception_fp_ieee_overflow 0
		.amdhsa_exception_fp_ieee_underflow 0
		.amdhsa_exception_fp_ieee_inexact 0
		.amdhsa_exception_int_div_zero 0
	.end_amdhsa_kernel
	.section	.text._Z11rank_kernelILj128ELj1ELj4ELb0EL18RadixRankAlgorithm1E6__halfEvPKT4_Pijj,"axG",@progbits,_Z11rank_kernelILj128ELj1ELj4ELb0EL18RadixRankAlgorithm1E6__halfEvPKT4_Pijj,comdat
.Lfunc_end48:
	.size	_Z11rank_kernelILj128ELj1ELj4ELb0EL18RadixRankAlgorithm1E6__halfEvPKT4_Pijj, .Lfunc_end48-_Z11rank_kernelILj128ELj1ELj4ELb0EL18RadixRankAlgorithm1E6__halfEvPKT4_Pijj
                                        ; -- End function
	.set _Z11rank_kernelILj128ELj1ELj4ELb0EL18RadixRankAlgorithm1E6__halfEvPKT4_Pijj.num_vgpr, 19
	.set _Z11rank_kernelILj128ELj1ELj4ELb0EL18RadixRankAlgorithm1E6__halfEvPKT4_Pijj.num_agpr, 0
	.set _Z11rank_kernelILj128ELj1ELj4ELb0EL18RadixRankAlgorithm1E6__halfEvPKT4_Pijj.numbered_sgpr, 10
	.set _Z11rank_kernelILj128ELj1ELj4ELb0EL18RadixRankAlgorithm1E6__halfEvPKT4_Pijj.num_named_barrier, 0
	.set _Z11rank_kernelILj128ELj1ELj4ELb0EL18RadixRankAlgorithm1E6__halfEvPKT4_Pijj.private_seg_size, 0
	.set _Z11rank_kernelILj128ELj1ELj4ELb0EL18RadixRankAlgorithm1E6__halfEvPKT4_Pijj.uses_vcc, 1
	.set _Z11rank_kernelILj128ELj1ELj4ELb0EL18RadixRankAlgorithm1E6__halfEvPKT4_Pijj.uses_flat_scratch, 0
	.set _Z11rank_kernelILj128ELj1ELj4ELb0EL18RadixRankAlgorithm1E6__halfEvPKT4_Pijj.has_dyn_sized_stack, 0
	.set _Z11rank_kernelILj128ELj1ELj4ELb0EL18RadixRankAlgorithm1E6__halfEvPKT4_Pijj.has_recursion, 0
	.set _Z11rank_kernelILj128ELj1ELj4ELb0EL18RadixRankAlgorithm1E6__halfEvPKT4_Pijj.has_indirect_call, 0
	.section	.AMDGPU.csdata,"",@progbits
; Kernel info:
; codeLenInByte = 936
; TotalNumSgprs: 14
; NumVgprs: 19
; ScratchSize: 0
; MemoryBound: 0
; FloatMode: 240
; IeeeMode: 1
; LDSByteSize: 4112 bytes/workgroup (compile time only)
; SGPRBlocks: 8
; VGPRBlocks: 7
; NumSGPRsForWavesPerEU: 65
; NumVGPRsForWavesPerEU: 29
; Occupancy: 8
; WaveLimiterHint : 0
; COMPUTE_PGM_RSRC2:SCRATCH_EN: 0
; COMPUTE_PGM_RSRC2:USER_SGPR: 6
; COMPUTE_PGM_RSRC2:TRAP_HANDLER: 0
; COMPUTE_PGM_RSRC2:TGID_X_EN: 1
; COMPUTE_PGM_RSRC2:TGID_Y_EN: 0
; COMPUTE_PGM_RSRC2:TGID_Z_EN: 0
; COMPUTE_PGM_RSRC2:TIDIG_COMP_CNT: 0
	.section	.text._Z11rank_kernelILj64ELj1ELj4ELb0EL18RadixRankAlgorithm1EjEvPKT4_Pijj,"axG",@progbits,_Z11rank_kernelILj64ELj1ELj4ELb0EL18RadixRankAlgorithm1EjEvPKT4_Pijj,comdat
	.protected	_Z11rank_kernelILj64ELj1ELj4ELb0EL18RadixRankAlgorithm1EjEvPKT4_Pijj ; -- Begin function _Z11rank_kernelILj64ELj1ELj4ELb0EL18RadixRankAlgorithm1EjEvPKT4_Pijj
	.globl	_Z11rank_kernelILj64ELj1ELj4ELb0EL18RadixRankAlgorithm1EjEvPKT4_Pijj
	.p2align	8
	.type	_Z11rank_kernelILj64ELj1ELj4ELb0EL18RadixRankAlgorithm1EjEvPKT4_Pijj,@function
_Z11rank_kernelILj64ELj1ELj4ELb0EL18RadixRankAlgorithm1EjEvPKT4_Pijj: ; @_Z11rank_kernelILj64ELj1ELj4ELb0EL18RadixRankAlgorithm1EjEvPKT4_Pijj
; %bb.0:
	s_load_dwordx4 s[0:3], s[4:5], 0x0
	s_lshl_b32 s6, s6, 6
	s_mov_b32 s7, 0
	s_lshl_b64 s[6:7], s[6:7], 2
	v_lshlrev_b32_e32 v9, 2, v0
	s_waitcnt lgkmcnt(0)
	s_add_u32 s0, s0, s6
	s_addc_u32 s1, s1, s7
	global_load_dword v1, v9, s[0:1]
	s_movk_i32 s0, 0x200
	v_mov_b32_e32 v2, 0
	v_cmp_gt_u32_e32 vcc, s0, v0
	s_and_saveexec_b64 s[0:1], vcc
	s_cbranch_execz .LBB49_9
; %bb.1:
	s_movk_i32 s8, 0x1c0
	v_cmp_gt_u32_e32 vcc, s8, v0
	ds_write_b32 v9, v2
	s_and_b64 exec, exec, vcc
	s_cbranch_execz .LBB49_9
; %bb.2:
	s_movk_i32 s8, 0x180
	v_mov_b32_e32 v2, 0
	v_cmp_gt_u32_e32 vcc, s8, v0
	ds_write_b32 v9, v2 offset:256
	s_and_b64 exec, exec, vcc
	s_cbranch_execz .LBB49_9
; %bb.3:
	s_movk_i32 s8, 0x140
	v_cmp_gt_u32_e32 vcc, s8, v0
	ds_write_b32 v9, v2 offset:512
	s_and_b64 exec, exec, vcc
	s_cbranch_execz .LBB49_9
; %bb.4:
	s_movk_i32 s8, 0x100
	v_mov_b32_e32 v2, 0
	v_cmp_gt_u32_e32 vcc, s8, v0
	ds_write_b32 v9, v2 offset:768
	s_and_b64 exec, exec, vcc
	s_cbranch_execz .LBB49_9
; %bb.5:
	s_movk_i32 s8, 0xc0
	v_cmp_gt_u32_e32 vcc, s8, v0
	ds_write_b32 v9, v2 offset:1024
	s_and_b64 exec, exec, vcc
	s_cbranch_execz .LBB49_9
; %bb.6:
	s_movk_i32 s8, 0x80
	v_mov_b32_e32 v2, 0
	v_cmp_gt_u32_e32 vcc, s8, v0
	ds_write_b32 v9, v2 offset:1280
	s_and_b64 exec, exec, vcc
	s_cbranch_execz .LBB49_9
; %bb.7:
	v_cmp_gt_u32_e32 vcc, 64, v0
	ds_write_b32 v9, v2 offset:1536
	s_and_b64 exec, exec, vcc
; %bb.8:
	v_mov_b32_e32 v2, 0
	ds_write_b32 v9, v2 offset:1792
.LBB49_9:
	s_or_b64 exec, exec, s[0:1]
	s_load_dwordx2 s[0:1], s[4:5], 0x10
	v_lshlrev_b32_e32 v12, 5, v0
	s_waitcnt lgkmcnt(0)
	s_and_b32 s1, s1, 31
	s_and_b32 s0, s0, 31
	s_add_i32 s0, s0, s1
	s_sub_i32 s4, 32, s1
	s_sub_i32 s0, 32, s0
	s_waitcnt vmcnt(0)
	v_lshlrev_b32_e32 v1, s0, v1
	s_cmp_lg_u32 s1, 0
	v_lshrrev_b32_e32 v1, s4, v1
	s_cselect_b64 vcc, -1, 0
	v_cndmask_b32_e32 v1, 0, v1, vcc
	v_lshlrev_b32_e32 v2, 6, v1
	s_movk_i32 s0, 0x1c0
	v_lshrrev_b32_e32 v1, 2, v1
	v_and_or_b32 v2, v2, s0, v0
	v_and_b32_e32 v1, 0x3ffffffe, v1
	v_lshl_add_u32 v10, v2, 2, v1
	ds_read_u16 v11, v10
	s_waitcnt lgkmcnt(0)
	v_add_u16_e32 v1, 1, v11
	ds_write_b16 v10, v1
	s_waitcnt lgkmcnt(0)
	; wave barrier
	ds_read_b128 v[5:8], v12
	ds_read_b128 v[1:4], v12 offset:16
	s_waitcnt lgkmcnt(1)
	v_add_u32_e32 v13, v6, v5
	v_add3_u32 v13, v13, v7, v8
	s_waitcnt lgkmcnt(0)
	v_add3_u32 v13, v13, v1, v2
	v_add3_u32 v13, v13, v3, v4
	v_mbcnt_lo_u32_b32 v4, -1, 0
	v_mbcnt_hi_u32_b32 v4, -1, v4
	v_and_b32_e32 v14, 15, v4
	v_mov_b32_dpp v15, v13 row_shr:1 row_mask:0xf bank_mask:0xf
	v_cmp_ne_u32_e32 vcc, 0, v14
	v_cndmask_b32_e32 v15, 0, v15, vcc
	v_add_u32_e32 v13, v15, v13
	v_cmp_lt_u32_e32 vcc, 1, v14
	s_nop 0
	v_mov_b32_dpp v15, v13 row_shr:2 row_mask:0xf bank_mask:0xf
	v_cndmask_b32_e32 v15, 0, v15, vcc
	v_add_u32_e32 v13, v13, v15
	v_cmp_lt_u32_e32 vcc, 3, v14
	s_nop 0
	v_mov_b32_dpp v15, v13 row_shr:4 row_mask:0xf bank_mask:0xf
	;; [unrolled: 5-line block ×3, first 2 shown]
	v_cndmask_b32_e32 v14, 0, v15, vcc
	v_add_u32_e32 v13, v13, v14
	v_bfe_i32 v15, v4, 4, 1
	v_cmp_lt_u32_e32 vcc, 31, v4
	v_mov_b32_dpp v14, v13 row_bcast:15 row_mask:0xf bank_mask:0xf
	v_and_b32_e32 v14, v15, v14
	v_add_u32_e32 v13, v13, v14
	s_nop 1
	v_mov_b32_dpp v14, v13 row_bcast:31 row_mask:0xf bank_mask:0xf
	v_cndmask_b32_e32 v14, 0, v14, vcc
	v_add_u32_e32 v13, v13, v14
	v_cmp_eq_u32_e32 vcc, 63, v0
	s_and_saveexec_b64 s[0:1], vcc
; %bb.10:
	v_mov_b32_e32 v0, 0
	ds_write_b32 v0, v13 offset:2048
; %bb.11:
	s_or_b64 exec, exec, s[0:1]
	v_subrev_co_u32_e32 v0, vcc, 1, v4
	v_and_b32_e32 v14, 64, v4
	v_cmp_lt_i32_e64 s[0:1], v0, v14
	v_cndmask_b32_e64 v0, v0, v4, s[0:1]
	v_lshlrev_b32_e32 v0, 2, v0
	ds_bpermute_b32 v0, v0, v13
	v_mov_b32_e32 v4, 0
	s_waitcnt lgkmcnt(0)
	; wave barrier
	ds_read_b32 v4, v4 offset:2048
	v_cndmask_b32_e64 v0, v0, 0, vcc
	s_add_u32 s0, s2, s6
	s_addc_u32 s1, s3, s7
	s_waitcnt lgkmcnt(0)
	v_lshl_add_u32 v4, v4, 16, v0
	v_add_u32_e32 v5, v4, v5
	v_add_u32_e32 v6, v5, v6
	v_add_u32_e32 v7, v6, v7
	v_add_u32_e32 v0, v7, v8
	v_add_u32_e32 v1, v0, v1
	v_add_u32_e32 v2, v1, v2
	v_add_u32_e32 v3, v2, v3
	ds_write_b128 v12, v[4:7]
	ds_write_b128 v12, v[0:3] offset:16
	s_waitcnt lgkmcnt(0)
	; wave barrier
	ds_read_u16 v0, v10
	s_waitcnt lgkmcnt(0)
	v_add_u32_sdwa v0, v0, v11 dst_sel:DWORD dst_unused:UNUSED_PAD src0_sel:DWORD src1_sel:WORD_0
	global_store_dword v9, v0, s[0:1]
	s_endpgm
	.section	.rodata,"a",@progbits
	.p2align	6, 0x0
	.amdhsa_kernel _Z11rank_kernelILj64ELj1ELj4ELb0EL18RadixRankAlgorithm1EjEvPKT4_Pijj
		.amdhsa_group_segment_fixed_size 2064
		.amdhsa_private_segment_fixed_size 0
		.amdhsa_kernarg_size 24
		.amdhsa_user_sgpr_count 6
		.amdhsa_user_sgpr_private_segment_buffer 1
		.amdhsa_user_sgpr_dispatch_ptr 0
		.amdhsa_user_sgpr_queue_ptr 0
		.amdhsa_user_sgpr_kernarg_segment_ptr 1
		.amdhsa_user_sgpr_dispatch_id 0
		.amdhsa_user_sgpr_flat_scratch_init 0
		.amdhsa_user_sgpr_private_segment_size 0
		.amdhsa_uses_dynamic_stack 0
		.amdhsa_system_sgpr_private_segment_wavefront_offset 0
		.amdhsa_system_sgpr_workgroup_id_x 1
		.amdhsa_system_sgpr_workgroup_id_y 0
		.amdhsa_system_sgpr_workgroup_id_z 0
		.amdhsa_system_sgpr_workgroup_info 0
		.amdhsa_system_vgpr_workitem_id 0
		.amdhsa_next_free_vgpr 29
		.amdhsa_next_free_sgpr 61
		.amdhsa_reserve_vcc 1
		.amdhsa_reserve_flat_scratch 0
		.amdhsa_float_round_mode_32 0
		.amdhsa_float_round_mode_16_64 0
		.amdhsa_float_denorm_mode_32 3
		.amdhsa_float_denorm_mode_16_64 3
		.amdhsa_dx10_clamp 1
		.amdhsa_ieee_mode 1
		.amdhsa_fp16_overflow 0
		.amdhsa_exception_fp_ieee_invalid_op 0
		.amdhsa_exception_fp_denorm_src 0
		.amdhsa_exception_fp_ieee_div_zero 0
		.amdhsa_exception_fp_ieee_overflow 0
		.amdhsa_exception_fp_ieee_underflow 0
		.amdhsa_exception_fp_ieee_inexact 0
		.amdhsa_exception_int_div_zero 0
	.end_amdhsa_kernel
	.section	.text._Z11rank_kernelILj64ELj1ELj4ELb0EL18RadixRankAlgorithm1EjEvPKT4_Pijj,"axG",@progbits,_Z11rank_kernelILj64ELj1ELj4ELb0EL18RadixRankAlgorithm1EjEvPKT4_Pijj,comdat
.Lfunc_end49:
	.size	_Z11rank_kernelILj64ELj1ELj4ELb0EL18RadixRankAlgorithm1EjEvPKT4_Pijj, .Lfunc_end49-_Z11rank_kernelILj64ELj1ELj4ELb0EL18RadixRankAlgorithm1EjEvPKT4_Pijj
                                        ; -- End function
	.set _Z11rank_kernelILj64ELj1ELj4ELb0EL18RadixRankAlgorithm1EjEvPKT4_Pijj.num_vgpr, 16
	.set _Z11rank_kernelILj64ELj1ELj4ELb0EL18RadixRankAlgorithm1EjEvPKT4_Pijj.num_agpr, 0
	.set _Z11rank_kernelILj64ELj1ELj4ELb0EL18RadixRankAlgorithm1EjEvPKT4_Pijj.numbered_sgpr, 9
	.set _Z11rank_kernelILj64ELj1ELj4ELb0EL18RadixRankAlgorithm1EjEvPKT4_Pijj.num_named_barrier, 0
	.set _Z11rank_kernelILj64ELj1ELj4ELb0EL18RadixRankAlgorithm1EjEvPKT4_Pijj.private_seg_size, 0
	.set _Z11rank_kernelILj64ELj1ELj4ELb0EL18RadixRankAlgorithm1EjEvPKT4_Pijj.uses_vcc, 1
	.set _Z11rank_kernelILj64ELj1ELj4ELb0EL18RadixRankAlgorithm1EjEvPKT4_Pijj.uses_flat_scratch, 0
	.set _Z11rank_kernelILj64ELj1ELj4ELb0EL18RadixRankAlgorithm1EjEvPKT4_Pijj.has_dyn_sized_stack, 0
	.set _Z11rank_kernelILj64ELj1ELj4ELb0EL18RadixRankAlgorithm1EjEvPKT4_Pijj.has_recursion, 0
	.set _Z11rank_kernelILj64ELj1ELj4ELb0EL18RadixRankAlgorithm1EjEvPKT4_Pijj.has_indirect_call, 0
	.section	.AMDGPU.csdata,"",@progbits
; Kernel info:
; codeLenInByte = 772
; TotalNumSgprs: 13
; NumVgprs: 16
; ScratchSize: 0
; MemoryBound: 0
; FloatMode: 240
; IeeeMode: 1
; LDSByteSize: 2064 bytes/workgroup (compile time only)
; SGPRBlocks: 8
; VGPRBlocks: 7
; NumSGPRsForWavesPerEU: 65
; NumVGPRsForWavesPerEU: 29
; Occupancy: 8
; WaveLimiterHint : 0
; COMPUTE_PGM_RSRC2:SCRATCH_EN: 0
; COMPUTE_PGM_RSRC2:USER_SGPR: 6
; COMPUTE_PGM_RSRC2:TRAP_HANDLER: 0
; COMPUTE_PGM_RSRC2:TGID_X_EN: 1
; COMPUTE_PGM_RSRC2:TGID_Y_EN: 0
; COMPUTE_PGM_RSRC2:TGID_Z_EN: 0
; COMPUTE_PGM_RSRC2:TIDIG_COMP_CNT: 0
	.section	.text._Z11rank_kernelILj193ELj2ELj4ELb1EL18RadixRankAlgorithm2E12hip_bfloat16EvPKT4_Pijj,"axG",@progbits,_Z11rank_kernelILj193ELj2ELj4ELb1EL18RadixRankAlgorithm2E12hip_bfloat16EvPKT4_Pijj,comdat
	.protected	_Z11rank_kernelILj193ELj2ELj4ELb1EL18RadixRankAlgorithm2E12hip_bfloat16EvPKT4_Pijj ; -- Begin function _Z11rank_kernelILj193ELj2ELj4ELb1EL18RadixRankAlgorithm2E12hip_bfloat16EvPKT4_Pijj
	.globl	_Z11rank_kernelILj193ELj2ELj4ELb1EL18RadixRankAlgorithm2E12hip_bfloat16EvPKT4_Pijj
	.p2align	8
	.type	_Z11rank_kernelILj193ELj2ELj4ELb1EL18RadixRankAlgorithm2E12hip_bfloat16EvPKT4_Pijj,@function
_Z11rank_kernelILj193ELj2ELj4ELb1EL18RadixRankAlgorithm2E12hip_bfloat16EvPKT4_Pijj: ; @_Z11rank_kernelILj193ELj2ELj4ELb1EL18RadixRankAlgorithm2E12hip_bfloat16EvPKT4_Pijj
; %bb.0:
	s_load_dwordx4 s[0:3], s[4:5], 0x0
	s_load_dwordx2 s[10:11], s[4:5], 0x10
	s_mulk_i32 s6, 0x182
	s_mov_b32 s7, 0
	s_lshl_b64 s[8:9], s[6:7], 1
	s_waitcnt lgkmcnt(0)
	s_add_u32 s0, s0, s8
	s_addc_u32 s1, s1, s9
	v_lshlrev_b32_e32 v5, 2, v0
	global_load_dword v4, v5, s[0:1]
	s_load_dword s4, s[4:5], 0x24
	v_mbcnt_lo_u32_b32 v7, -1, 0
	s_movk_i32 s0, 0xc0
	v_and_b32_e32 v12, 0xc0, v0
	s_movk_i32 s1, 0x180
	v_lshlrev_b32_e32 v6, 1, v0
	v_mbcnt_hi_u32_b32 v9, -1, v7
	v_cmp_eq_u32_e32 vcc, s0, v12
	s_waitcnt lgkmcnt(0)
	s_lshr_b32 s0, s4, 16
	v_and_or_b32 v7, v6, s1, v9
	s_and_b32 s1, s4, 0xffff
	v_mad_u32_u24 v1, v2, s0, v1
	v_cndmask_b32_e64 v8, 64, 1, vcc
	v_mad_u64_u32 v[1:2], s[0:1], v1, s1, v[0:1]
	v_add_u32_e32 v10, v9, v12
	v_add_u32_e32 v8, v7, v8
	v_lshrrev_b32_e32 v11, 3, v10
	v_lshrrev_b32_e32 v13, 4, v7
	;; [unrolled: 1-line block ×3, first 2 shown]
	v_and_b32_e32 v11, 60, v11
	v_and_b32_e32 v13, 28, v13
	;; [unrolled: 1-line block ×3, first 2 shown]
	v_lshl_add_u32 v11, v10, 2, v11
	v_lshl_add_u32 v13, v7, 1, v13
	;; [unrolled: 1-line block ×3, first 2 shown]
	v_lshrrev_b32_e32 v1, 6, v1
	v_lshlrev_b32_e32 v15, 2, v1
	v_mov_b32_e32 v14, 0xffff8000
	s_and_b32 s11, s11, 31
	s_cmp_eq_u32 s11, 0
	s_movk_i32 s8, 0x7fff
	s_cselect_b64 s[4:5], -1, 0
	s_and_b32 s0, s10, 31
	s_add_i32 s0, s0, s11
	s_sub_i32 s10, 32, s0
	s_sub_i32 s9, 32, s11
	v_mov_b32_e32 v3, 0
	s_waitcnt vmcnt(0)
	ds_write_b32 v11, v4
	; wave barrier
	ds_read_u16 v1, v13
	ds_read_u16 v16, v16
	s_waitcnt lgkmcnt(0)
	s_barrier
	v_cmp_lt_i16_e32 vcc, -1, v1
	v_cndmask_b32_e32 v2, -1, v14, vcc
	v_xor_b32_e32 v1, v2, v1
	v_cmp_ne_u16_e32 vcc, s8, v1
	v_cndmask_b32_e32 v1, v14, v1, vcc
	v_lshlrev_b32_sdwa v1, s10, v1 dst_sel:DWORD dst_unused:UNUSED_PAD src0_sel:DWORD src1_sel:WORD_0
	v_bfe_u32 v1, v1, s9, 16
	v_xor_b32_e32 v1, 15, v1
	v_cndmask_b32_e64 v1, v1, 15, s[4:5]
	v_and_b32_e32 v2, 1, v1
	v_add_co_u32_e32 v13, vcc, -1, v2
	v_lshlrev_b32_e32 v4, 30, v1
	v_addc_co_u32_e64 v17, s[0:1], 0, -1, vcc
	v_cmp_ne_u32_e32 vcc, 0, v2
	v_cmp_gt_i64_e64 s[0:1], 0, v[3:4]
	v_not_b32_e32 v2, v4
	v_lshlrev_b32_e32 v4, 29, v1
	v_xor_b32_e32 v17, vcc_hi, v17
	v_xor_b32_e32 v13, vcc_lo, v13
	v_ashrrev_i32_e32 v2, 31, v2
	v_cmp_gt_i64_e32 vcc, 0, v[3:4]
	v_not_b32_e32 v18, v4
	v_lshlrev_b32_e32 v4, 28, v1
	v_mad_u32_u24 v11, v1, 20, v15
	v_and_b32_e32 v1, exec_hi, v17
	v_and_b32_e32 v13, exec_lo, v13
	v_xor_b32_e32 v17, s1, v2
	v_xor_b32_e32 v2, s0, v2
	v_ashrrev_i32_e32 v18, 31, v18
	v_cmp_gt_i64_e64 s[0:1], 0, v[3:4]
	v_not_b32_e32 v4, v4
	v_and_b32_e32 v1, v1, v17
	v_and_b32_e32 v2, v13, v2
	v_xor_b32_e32 v13, vcc_hi, v18
	v_xor_b32_e32 v17, vcc_lo, v18
	v_ashrrev_i32_e32 v4, 31, v4
	v_and_b32_e32 v1, v1, v13
	v_and_b32_e32 v13, v2, v17
	v_xor_b32_e32 v2, s1, v4
	v_xor_b32_e32 v4, s0, v4
	v_and_b32_e32 v2, v1, v2
	v_and_b32_e32 v1, v13, v4
	v_mbcnt_lo_u32_b32 v4, v1, 0
	v_mbcnt_hi_u32_b32 v13, v2, v4
	v_cmp_ne_u64_e32 vcc, 0, v[1:2]
	v_cmp_eq_u32_e64 s[0:1], 0, v13
	s_and_b64 s[12:13], vcc, s[0:1]
	ds_write_b32 v5, v3 offset:16
	s_waitcnt lgkmcnt(0)
	s_barrier
	; wave barrier
	s_and_saveexec_b64 s[0:1], s[12:13]
; %bb.1:
	v_bcnt_u32_b32 v1, v1, 0
	v_bcnt_u32_b32 v1, v2, v1
	ds_write_b32 v11, v1 offset:16
; %bb.2:
	s_or_b64 exec, exec, s[0:1]
	v_cmp_lt_i16_e32 vcc, -1, v16
	v_cndmask_b32_e32 v1, -1, v14, vcc
	v_xor_b32_e32 v1, v1, v16
	v_cmp_ne_u16_e32 vcc, s8, v1
	v_cndmask_b32_e32 v1, v14, v1, vcc
	v_lshlrev_b32_sdwa v1, s10, v1 dst_sel:DWORD dst_unused:UNUSED_PAD src0_sel:DWORD src1_sel:WORD_0
	v_lshrrev_b32_e32 v1, s9, v1
	v_mov_b32_e32 v2, 15
	v_xor_b32_sdwa v1, v1, v2 dst_sel:DWORD dst_unused:UNUSED_PAD src0_sel:WORD_0 src1_sel:DWORD
	v_cndmask_b32_e64 v1, v1, 15, s[4:5]
	v_and_b32_e32 v2, 1, v1
	v_add_co_u32_e32 v4, vcc, -1, v2
	v_addc_co_u32_e64 v16, s[0:1], 0, -1, vcc
	v_cmp_ne_u32_e32 vcc, 0, v2
	v_xor_b32_e32 v4, vcc_lo, v4
	v_xor_b32_e32 v2, vcc_hi, v16
	v_and_b32_e32 v16, exec_lo, v4
	v_lshlrev_b32_e32 v4, 30, v1
	v_cmp_gt_i64_e32 vcc, 0, v[3:4]
	v_not_b32_e32 v4, v4
	v_ashrrev_i32_e32 v4, 31, v4
	v_xor_b32_e32 v17, vcc_hi, v4
	v_xor_b32_e32 v4, vcc_lo, v4
	v_and_b32_e32 v16, v16, v4
	v_lshlrev_b32_e32 v4, 29, v1
	v_cmp_gt_i64_e32 vcc, 0, v[3:4]
	v_not_b32_e32 v4, v4
	v_and_b32_e32 v2, exec_hi, v2
	v_ashrrev_i32_e32 v4, 31, v4
	v_and_b32_e32 v2, v2, v17
	v_xor_b32_e32 v17, vcc_hi, v4
	v_xor_b32_e32 v4, vcc_lo, v4
	v_and_b32_e32 v16, v16, v4
	v_lshlrev_b32_e32 v4, 28, v1
	v_mad_u32_u24 v15, v1, 20, v15
	v_cmp_gt_i64_e32 vcc, 0, v[3:4]
	v_not_b32_e32 v1, v4
	v_ashrrev_i32_e32 v1, 31, v1
	v_xor_b32_e32 v3, vcc_hi, v1
	v_xor_b32_e32 v1, vcc_lo, v1
	; wave barrier
	ds_read_b32 v14, v15 offset:16
	v_and_b32_e32 v2, v2, v17
	v_and_b32_e32 v1, v16, v1
	;; [unrolled: 1-line block ×3, first 2 shown]
	v_mbcnt_lo_u32_b32 v3, v1, 0
	v_mbcnt_hi_u32_b32 v3, v2, v3
	v_cmp_ne_u64_e32 vcc, 0, v[1:2]
	v_cmp_eq_u32_e64 s[0:1], 0, v3
	s_and_b64 s[4:5], vcc, s[0:1]
	; wave barrier
	s_and_saveexec_b64 s[0:1], s[4:5]
	s_cbranch_execz .LBB50_4
; %bb.3:
	v_bcnt_u32_b32 v1, v1, 0
	v_bcnt_u32_b32 v1, v2, v1
	s_waitcnt lgkmcnt(0)
	v_add_u32_e32 v1, v14, v1
	ds_write_b32 v15, v1 offset:16
.LBB50_4:
	s_or_b64 exec, exec, s[0:1]
	; wave barrier
	s_waitcnt lgkmcnt(0)
	s_barrier
	ds_read_b32 v1, v5 offset:16
	v_and_b32_e32 v2, 15, v9
	v_cmp_ne_u32_e32 vcc, 0, v2
	s_waitcnt lgkmcnt(0)
	v_mov_b32_dpp v4, v1 row_shr:1 row_mask:0xf bank_mask:0xf
	v_cndmask_b32_e32 v4, 0, v4, vcc
	v_add_u32_e32 v1, v4, v1
	v_cmp_lt_u32_e32 vcc, 1, v2
	s_nop 0
	v_mov_b32_dpp v4, v1 row_shr:2 row_mask:0xf bank_mask:0xf
	v_cndmask_b32_e32 v4, 0, v4, vcc
	v_add_u32_e32 v1, v1, v4
	v_cmp_lt_u32_e32 vcc, 3, v2
	s_nop 0
	v_mov_b32_dpp v4, v1 row_shr:4 row_mask:0xf bank_mask:0xf
	v_cndmask_b32_e32 v4, 0, v4, vcc
	v_add_u32_e32 v1, v1, v4
	v_cmp_lt_u32_e32 vcc, 7, v2
	s_nop 0
	v_mov_b32_dpp v4, v1 row_shr:8 row_mask:0xf bank_mask:0xf
	v_cndmask_b32_e32 v2, 0, v4, vcc
	v_add_u32_e32 v1, v1, v2
	v_bfe_i32 v4, v9, 4, 1
	v_cmp_lt_u32_e32 vcc, 31, v9
	v_mov_b32_dpp v2, v1 row_bcast:15 row_mask:0xf bank_mask:0xf
	v_and_b32_e32 v2, v4, v2
	v_add_u32_e32 v1, v1, v2
	v_min_u32_e32 v4, 0x81, v12
	v_add_u32_e32 v4, 63, v4
	v_mov_b32_dpp v2, v1 row_bcast:31 row_mask:0xf bank_mask:0xf
	v_cndmask_b32_e32 v2, 0, v2, vcc
	v_add_u32_e32 v1, v1, v2
	v_lshrrev_b32_e32 v2, 6, v0
	v_cmp_eq_u32_e32 vcc, v0, v4
	s_and_saveexec_b64 s[0:1], vcc
; %bb.5:
	v_lshlrev_b32_e32 v4, 2, v2
	ds_write_b32 v4, v1
; %bb.6:
	s_or_b64 exec, exec, s[0:1]
	v_cmp_gt_u32_e32 vcc, 4, v0
	s_waitcnt lgkmcnt(0)
	s_barrier
	s_and_saveexec_b64 s[0:1], vcc
	s_cbranch_execz .LBB50_8
; %bb.7:
	ds_read_b32 v4, v5
	v_and_b32_e32 v12, 3, v9
	v_cmp_ne_u32_e32 vcc, 0, v12
	s_waitcnt lgkmcnt(0)
	v_mov_b32_dpp v16, v4 row_shr:1 row_mask:0xf bank_mask:0xf
	v_cndmask_b32_e32 v16, 0, v16, vcc
	v_add_u32_e32 v4, v16, v4
	v_cmp_lt_u32_e32 vcc, 1, v12
	s_nop 0
	v_mov_b32_dpp v16, v4 row_shr:2 row_mask:0xf bank_mask:0xf
	v_cndmask_b32_e32 v12, 0, v16, vcc
	v_add_u32_e32 v4, v4, v12
	ds_write_b32 v5, v4
.LBB50_8:
	s_or_b64 exec, exec, s[0:1]
	v_lshlrev_b32_e32 v4, 1, v10
	v_bfe_u32 v10, v10, 4, 27
	v_lshrrev_b32_e32 v16, 5, v7
	v_lshrrev_b32_e32 v12, 5, v8
	v_cmp_lt_u32_e32 vcc, 63, v0
	v_mov_b32_e32 v0, 0
	s_waitcnt lgkmcnt(0)
	s_barrier
	s_and_saveexec_b64 s[0:1], vcc
; %bb.9:
	v_lshl_add_u32 v0, v2, 2, -4
	ds_read_b32 v0, v0
; %bb.10:
	s_or_b64 exec, exec, s[0:1]
	v_subrev_co_u32_e32 v2, vcc, 1, v9
	v_and_b32_e32 v17, 64, v9
	v_cmp_lt_i32_e64 s[0:1], v2, v17
	v_cndmask_b32_e64 v2, v2, v9, s[0:1]
	s_waitcnt lgkmcnt(0)
	v_add_u32_e32 v1, v0, v1
	v_lshlrev_b32_e32 v2, 2, v2
	ds_bpermute_b32 v1, v2, v1
	v_lshlrev_b32_e32 v2, 2, v7
	v_lshl_add_u32 v2, v16, 2, v2
	s_lshl_b64 s[0:1], s[6:7], 2
	s_add_u32 s0, s2, s0
	s_waitcnt lgkmcnt(0)
	v_cndmask_b32_e32 v0, v1, v0, vcc
	ds_write_b32 v5, v0 offset:16
	s_waitcnt lgkmcnt(0)
	s_barrier
	ds_read_b32 v0, v11 offset:16
	ds_read_b32 v1, v15 offset:16
	s_waitcnt lgkmcnt(0)
	s_barrier
	v_add_u32_e32 v0, v0, v13
	ds_write_b32 v2, v0
	v_lshlrev_b32_e32 v0, 2, v8
	v_add3_u32 v1, v3, v14, v1
	v_lshl_add_u32 v0, v12, 2, v0
	ds_write_b32 v0, v1
	v_add_lshl_u32 v0, v10, v4, 2
	; wave barrier
	ds_read2_b32 v[0:1], v0 offset1:1
	s_addc_u32 s1, s3, s1
	v_lshlrev_b32_e32 v2, 2, v6
	s_waitcnt lgkmcnt(0)
	global_store_dwordx2 v2, v[0:1], s[0:1]
	s_endpgm
	.section	.rodata,"a",@progbits
	.p2align	6, 0x0
	.amdhsa_kernel _Z11rank_kernelILj193ELj2ELj4ELb1EL18RadixRankAlgorithm2E12hip_bfloat16EvPKT4_Pijj
		.amdhsa_group_segment_fixed_size 1600
		.amdhsa_private_segment_fixed_size 0
		.amdhsa_kernarg_size 280
		.amdhsa_user_sgpr_count 6
		.amdhsa_user_sgpr_private_segment_buffer 1
		.amdhsa_user_sgpr_dispatch_ptr 0
		.amdhsa_user_sgpr_queue_ptr 0
		.amdhsa_user_sgpr_kernarg_segment_ptr 1
		.amdhsa_user_sgpr_dispatch_id 0
		.amdhsa_user_sgpr_flat_scratch_init 0
		.amdhsa_user_sgpr_private_segment_size 0
		.amdhsa_uses_dynamic_stack 0
		.amdhsa_system_sgpr_private_segment_wavefront_offset 0
		.amdhsa_system_sgpr_workgroup_id_x 1
		.amdhsa_system_sgpr_workgroup_id_y 0
		.amdhsa_system_sgpr_workgroup_id_z 0
		.amdhsa_system_sgpr_workgroup_info 0
		.amdhsa_system_vgpr_workitem_id 2
		.amdhsa_next_free_vgpr 19
		.amdhsa_next_free_sgpr 14
		.amdhsa_reserve_vcc 1
		.amdhsa_reserve_flat_scratch 0
		.amdhsa_float_round_mode_32 0
		.amdhsa_float_round_mode_16_64 0
		.amdhsa_float_denorm_mode_32 3
		.amdhsa_float_denorm_mode_16_64 3
		.amdhsa_dx10_clamp 1
		.amdhsa_ieee_mode 1
		.amdhsa_fp16_overflow 0
		.amdhsa_exception_fp_ieee_invalid_op 0
		.amdhsa_exception_fp_denorm_src 0
		.amdhsa_exception_fp_ieee_div_zero 0
		.amdhsa_exception_fp_ieee_overflow 0
		.amdhsa_exception_fp_ieee_underflow 0
		.amdhsa_exception_fp_ieee_inexact 0
		.amdhsa_exception_int_div_zero 0
	.end_amdhsa_kernel
	.section	.text._Z11rank_kernelILj193ELj2ELj4ELb1EL18RadixRankAlgorithm2E12hip_bfloat16EvPKT4_Pijj,"axG",@progbits,_Z11rank_kernelILj193ELj2ELj4ELb1EL18RadixRankAlgorithm2E12hip_bfloat16EvPKT4_Pijj,comdat
.Lfunc_end50:
	.size	_Z11rank_kernelILj193ELj2ELj4ELb1EL18RadixRankAlgorithm2E12hip_bfloat16EvPKT4_Pijj, .Lfunc_end50-_Z11rank_kernelILj193ELj2ELj4ELb1EL18RadixRankAlgorithm2E12hip_bfloat16EvPKT4_Pijj
                                        ; -- End function
	.set _Z11rank_kernelILj193ELj2ELj4ELb1EL18RadixRankAlgorithm2E12hip_bfloat16EvPKT4_Pijj.num_vgpr, 19
	.set _Z11rank_kernelILj193ELj2ELj4ELb1EL18RadixRankAlgorithm2E12hip_bfloat16EvPKT4_Pijj.num_agpr, 0
	.set _Z11rank_kernelILj193ELj2ELj4ELb1EL18RadixRankAlgorithm2E12hip_bfloat16EvPKT4_Pijj.numbered_sgpr, 14
	.set _Z11rank_kernelILj193ELj2ELj4ELb1EL18RadixRankAlgorithm2E12hip_bfloat16EvPKT4_Pijj.num_named_barrier, 0
	.set _Z11rank_kernelILj193ELj2ELj4ELb1EL18RadixRankAlgorithm2E12hip_bfloat16EvPKT4_Pijj.private_seg_size, 0
	.set _Z11rank_kernelILj193ELj2ELj4ELb1EL18RadixRankAlgorithm2E12hip_bfloat16EvPKT4_Pijj.uses_vcc, 1
	.set _Z11rank_kernelILj193ELj2ELj4ELb1EL18RadixRankAlgorithm2E12hip_bfloat16EvPKT4_Pijj.uses_flat_scratch, 0
	.set _Z11rank_kernelILj193ELj2ELj4ELb1EL18RadixRankAlgorithm2E12hip_bfloat16EvPKT4_Pijj.has_dyn_sized_stack, 0
	.set _Z11rank_kernelILj193ELj2ELj4ELb1EL18RadixRankAlgorithm2E12hip_bfloat16EvPKT4_Pijj.has_recursion, 0
	.set _Z11rank_kernelILj193ELj2ELj4ELb1EL18RadixRankAlgorithm2E12hip_bfloat16EvPKT4_Pijj.has_indirect_call, 0
	.section	.AMDGPU.csdata,"",@progbits
; Kernel info:
; codeLenInByte = 1388
; TotalNumSgprs: 18
; NumVgprs: 19
; ScratchSize: 0
; MemoryBound: 0
; FloatMode: 240
; IeeeMode: 1
; LDSByteSize: 1600 bytes/workgroup (compile time only)
; SGPRBlocks: 2
; VGPRBlocks: 4
; NumSGPRsForWavesPerEU: 18
; NumVGPRsForWavesPerEU: 19
; Occupancy: 10
; WaveLimiterHint : 0
; COMPUTE_PGM_RSRC2:SCRATCH_EN: 0
; COMPUTE_PGM_RSRC2:USER_SGPR: 6
; COMPUTE_PGM_RSRC2:TRAP_HANDLER: 0
; COMPUTE_PGM_RSRC2:TGID_X_EN: 1
; COMPUTE_PGM_RSRC2:TGID_Y_EN: 0
; COMPUTE_PGM_RSRC2:TGID_Z_EN: 0
; COMPUTE_PGM_RSRC2:TIDIG_COMP_CNT: 2
	.section	.text._Z11rank_kernelILj193ELj2ELj4ELb1EL18RadixRankAlgorithm2E6__halfEvPKT4_Pijj,"axG",@progbits,_Z11rank_kernelILj193ELj2ELj4ELb1EL18RadixRankAlgorithm2E6__halfEvPKT4_Pijj,comdat
	.protected	_Z11rank_kernelILj193ELj2ELj4ELb1EL18RadixRankAlgorithm2E6__halfEvPKT4_Pijj ; -- Begin function _Z11rank_kernelILj193ELj2ELj4ELb1EL18RadixRankAlgorithm2E6__halfEvPKT4_Pijj
	.globl	_Z11rank_kernelILj193ELj2ELj4ELb1EL18RadixRankAlgorithm2E6__halfEvPKT4_Pijj
	.p2align	8
	.type	_Z11rank_kernelILj193ELj2ELj4ELb1EL18RadixRankAlgorithm2E6__halfEvPKT4_Pijj,@function
_Z11rank_kernelILj193ELj2ELj4ELb1EL18RadixRankAlgorithm2E6__halfEvPKT4_Pijj: ; @_Z11rank_kernelILj193ELj2ELj4ELb1EL18RadixRankAlgorithm2E6__halfEvPKT4_Pijj
; %bb.0:
	s_load_dwordx4 s[0:3], s[4:5], 0x0
	s_load_dwordx2 s[10:11], s[4:5], 0x10
	s_mulk_i32 s6, 0x182
	s_mov_b32 s7, 0
	s_lshl_b64 s[8:9], s[6:7], 1
	s_waitcnt lgkmcnt(0)
	s_add_u32 s0, s0, s8
	s_addc_u32 s1, s1, s9
	v_lshlrev_b32_e32 v5, 2, v0
	global_load_dword v4, v5, s[0:1]
	s_load_dword s4, s[4:5], 0x24
	v_mbcnt_lo_u32_b32 v7, -1, 0
	s_movk_i32 s0, 0xc0
	v_and_b32_e32 v12, 0xc0, v0
	s_movk_i32 s1, 0x180
	v_lshlrev_b32_e32 v6, 1, v0
	v_mbcnt_hi_u32_b32 v9, -1, v7
	v_cmp_eq_u32_e32 vcc, s0, v12
	s_waitcnt lgkmcnt(0)
	s_lshr_b32 s0, s4, 16
	v_and_or_b32 v7, v6, s1, v9
	s_and_b32 s1, s4, 0xffff
	v_mad_u32_u24 v1, v2, s0, v1
	v_cndmask_b32_e64 v8, 64, 1, vcc
	v_mad_u64_u32 v[1:2], s[0:1], v1, s1, v[0:1]
	v_add_u32_e32 v10, v9, v12
	v_add_u32_e32 v8, v7, v8
	v_lshrrev_b32_e32 v11, 3, v10
	v_lshrrev_b32_e32 v13, 4, v7
	;; [unrolled: 1-line block ×3, first 2 shown]
	v_and_b32_e32 v11, 60, v11
	v_and_b32_e32 v13, 28, v13
	;; [unrolled: 1-line block ×3, first 2 shown]
	v_lshl_add_u32 v11, v10, 2, v11
	v_lshl_add_u32 v13, v7, 1, v13
	;; [unrolled: 1-line block ×3, first 2 shown]
	v_lshrrev_b32_e32 v1, 6, v1
	v_lshlrev_b32_e32 v15, 2, v1
	v_mov_b32_e32 v14, 0xffff8000
	s_and_b32 s11, s11, 31
	s_cmp_eq_u32 s11, 0
	s_movk_i32 s8, 0x7fff
	s_cselect_b64 s[4:5], -1, 0
	s_and_b32 s0, s10, 31
	s_add_i32 s0, s0, s11
	s_sub_i32 s10, 32, s0
	s_sub_i32 s9, 32, s11
	v_mov_b32_e32 v3, 0
	s_waitcnt vmcnt(0)
	ds_write_b32 v11, v4
	; wave barrier
	ds_read_u16 v1, v13
	ds_read_u16 v16, v16
	s_waitcnt lgkmcnt(0)
	s_barrier
	v_cmp_lt_i16_e32 vcc, -1, v1
	v_cndmask_b32_e32 v2, -1, v14, vcc
	v_xor_b32_e32 v1, v2, v1
	v_cmp_ne_u16_e32 vcc, s8, v1
	v_cndmask_b32_e32 v1, v14, v1, vcc
	v_lshlrev_b32_sdwa v1, s10, v1 dst_sel:DWORD dst_unused:UNUSED_PAD src0_sel:DWORD src1_sel:WORD_0
	v_bfe_u32 v1, v1, s9, 16
	v_xor_b32_e32 v1, 15, v1
	v_cndmask_b32_e64 v1, v1, 15, s[4:5]
	v_and_b32_e32 v2, 1, v1
	v_add_co_u32_e32 v13, vcc, -1, v2
	v_lshlrev_b32_e32 v4, 30, v1
	v_addc_co_u32_e64 v17, s[0:1], 0, -1, vcc
	v_cmp_ne_u32_e32 vcc, 0, v2
	v_cmp_gt_i64_e64 s[0:1], 0, v[3:4]
	v_not_b32_e32 v2, v4
	v_lshlrev_b32_e32 v4, 29, v1
	v_xor_b32_e32 v17, vcc_hi, v17
	v_xor_b32_e32 v13, vcc_lo, v13
	v_ashrrev_i32_e32 v2, 31, v2
	v_cmp_gt_i64_e32 vcc, 0, v[3:4]
	v_not_b32_e32 v18, v4
	v_lshlrev_b32_e32 v4, 28, v1
	v_mad_u32_u24 v11, v1, 20, v15
	v_and_b32_e32 v1, exec_hi, v17
	v_and_b32_e32 v13, exec_lo, v13
	v_xor_b32_e32 v17, s1, v2
	v_xor_b32_e32 v2, s0, v2
	v_ashrrev_i32_e32 v18, 31, v18
	v_cmp_gt_i64_e64 s[0:1], 0, v[3:4]
	v_not_b32_e32 v4, v4
	v_and_b32_e32 v1, v1, v17
	v_and_b32_e32 v2, v13, v2
	v_xor_b32_e32 v13, vcc_hi, v18
	v_xor_b32_e32 v17, vcc_lo, v18
	v_ashrrev_i32_e32 v4, 31, v4
	v_and_b32_e32 v1, v1, v13
	v_and_b32_e32 v13, v2, v17
	v_xor_b32_e32 v2, s1, v4
	v_xor_b32_e32 v4, s0, v4
	v_and_b32_e32 v2, v1, v2
	v_and_b32_e32 v1, v13, v4
	v_mbcnt_lo_u32_b32 v4, v1, 0
	v_mbcnt_hi_u32_b32 v13, v2, v4
	v_cmp_ne_u64_e32 vcc, 0, v[1:2]
	v_cmp_eq_u32_e64 s[0:1], 0, v13
	s_and_b64 s[12:13], vcc, s[0:1]
	ds_write_b32 v5, v3 offset:16
	s_waitcnt lgkmcnt(0)
	s_barrier
	; wave barrier
	s_and_saveexec_b64 s[0:1], s[12:13]
; %bb.1:
	v_bcnt_u32_b32 v1, v1, 0
	v_bcnt_u32_b32 v1, v2, v1
	ds_write_b32 v11, v1 offset:16
; %bb.2:
	s_or_b64 exec, exec, s[0:1]
	v_cmp_lt_i16_e32 vcc, -1, v16
	v_cndmask_b32_e32 v1, -1, v14, vcc
	v_xor_b32_e32 v1, v1, v16
	v_cmp_ne_u16_e32 vcc, s8, v1
	v_cndmask_b32_e32 v1, v14, v1, vcc
	v_lshlrev_b32_sdwa v1, s10, v1 dst_sel:DWORD dst_unused:UNUSED_PAD src0_sel:DWORD src1_sel:WORD_0
	v_lshrrev_b32_e32 v1, s9, v1
	v_mov_b32_e32 v2, 15
	v_xor_b32_sdwa v1, v1, v2 dst_sel:DWORD dst_unused:UNUSED_PAD src0_sel:WORD_0 src1_sel:DWORD
	v_cndmask_b32_e64 v1, v1, 15, s[4:5]
	v_and_b32_e32 v2, 1, v1
	v_add_co_u32_e32 v4, vcc, -1, v2
	v_addc_co_u32_e64 v16, s[0:1], 0, -1, vcc
	v_cmp_ne_u32_e32 vcc, 0, v2
	v_xor_b32_e32 v4, vcc_lo, v4
	v_xor_b32_e32 v2, vcc_hi, v16
	v_and_b32_e32 v16, exec_lo, v4
	v_lshlrev_b32_e32 v4, 30, v1
	v_cmp_gt_i64_e32 vcc, 0, v[3:4]
	v_not_b32_e32 v4, v4
	v_ashrrev_i32_e32 v4, 31, v4
	v_xor_b32_e32 v17, vcc_hi, v4
	v_xor_b32_e32 v4, vcc_lo, v4
	v_and_b32_e32 v16, v16, v4
	v_lshlrev_b32_e32 v4, 29, v1
	v_cmp_gt_i64_e32 vcc, 0, v[3:4]
	v_not_b32_e32 v4, v4
	v_and_b32_e32 v2, exec_hi, v2
	v_ashrrev_i32_e32 v4, 31, v4
	v_and_b32_e32 v2, v2, v17
	v_xor_b32_e32 v17, vcc_hi, v4
	v_xor_b32_e32 v4, vcc_lo, v4
	v_and_b32_e32 v16, v16, v4
	v_lshlrev_b32_e32 v4, 28, v1
	v_mad_u32_u24 v15, v1, 20, v15
	v_cmp_gt_i64_e32 vcc, 0, v[3:4]
	v_not_b32_e32 v1, v4
	v_ashrrev_i32_e32 v1, 31, v1
	v_xor_b32_e32 v3, vcc_hi, v1
	v_xor_b32_e32 v1, vcc_lo, v1
	; wave barrier
	ds_read_b32 v14, v15 offset:16
	v_and_b32_e32 v2, v2, v17
	v_and_b32_e32 v1, v16, v1
	v_and_b32_e32 v2, v2, v3
	v_mbcnt_lo_u32_b32 v3, v1, 0
	v_mbcnt_hi_u32_b32 v3, v2, v3
	v_cmp_ne_u64_e32 vcc, 0, v[1:2]
	v_cmp_eq_u32_e64 s[0:1], 0, v3
	s_and_b64 s[4:5], vcc, s[0:1]
	; wave barrier
	s_and_saveexec_b64 s[0:1], s[4:5]
	s_cbranch_execz .LBB51_4
; %bb.3:
	v_bcnt_u32_b32 v1, v1, 0
	v_bcnt_u32_b32 v1, v2, v1
	s_waitcnt lgkmcnt(0)
	v_add_u32_e32 v1, v14, v1
	ds_write_b32 v15, v1 offset:16
.LBB51_4:
	s_or_b64 exec, exec, s[0:1]
	; wave barrier
	s_waitcnt lgkmcnt(0)
	s_barrier
	ds_read_b32 v1, v5 offset:16
	v_and_b32_e32 v2, 15, v9
	v_cmp_ne_u32_e32 vcc, 0, v2
	s_waitcnt lgkmcnt(0)
	v_mov_b32_dpp v4, v1 row_shr:1 row_mask:0xf bank_mask:0xf
	v_cndmask_b32_e32 v4, 0, v4, vcc
	v_add_u32_e32 v1, v4, v1
	v_cmp_lt_u32_e32 vcc, 1, v2
	s_nop 0
	v_mov_b32_dpp v4, v1 row_shr:2 row_mask:0xf bank_mask:0xf
	v_cndmask_b32_e32 v4, 0, v4, vcc
	v_add_u32_e32 v1, v1, v4
	v_cmp_lt_u32_e32 vcc, 3, v2
	s_nop 0
	;; [unrolled: 5-line block ×3, first 2 shown]
	v_mov_b32_dpp v4, v1 row_shr:8 row_mask:0xf bank_mask:0xf
	v_cndmask_b32_e32 v2, 0, v4, vcc
	v_add_u32_e32 v1, v1, v2
	v_bfe_i32 v4, v9, 4, 1
	v_cmp_lt_u32_e32 vcc, 31, v9
	v_mov_b32_dpp v2, v1 row_bcast:15 row_mask:0xf bank_mask:0xf
	v_and_b32_e32 v2, v4, v2
	v_add_u32_e32 v1, v1, v2
	v_min_u32_e32 v4, 0x81, v12
	v_add_u32_e32 v4, 63, v4
	v_mov_b32_dpp v2, v1 row_bcast:31 row_mask:0xf bank_mask:0xf
	v_cndmask_b32_e32 v2, 0, v2, vcc
	v_add_u32_e32 v1, v1, v2
	v_lshrrev_b32_e32 v2, 6, v0
	v_cmp_eq_u32_e32 vcc, v0, v4
	s_and_saveexec_b64 s[0:1], vcc
; %bb.5:
	v_lshlrev_b32_e32 v4, 2, v2
	ds_write_b32 v4, v1
; %bb.6:
	s_or_b64 exec, exec, s[0:1]
	v_cmp_gt_u32_e32 vcc, 4, v0
	s_waitcnt lgkmcnt(0)
	s_barrier
	s_and_saveexec_b64 s[0:1], vcc
	s_cbranch_execz .LBB51_8
; %bb.7:
	ds_read_b32 v4, v5
	v_and_b32_e32 v12, 3, v9
	v_cmp_ne_u32_e32 vcc, 0, v12
	s_waitcnt lgkmcnt(0)
	v_mov_b32_dpp v16, v4 row_shr:1 row_mask:0xf bank_mask:0xf
	v_cndmask_b32_e32 v16, 0, v16, vcc
	v_add_u32_e32 v4, v16, v4
	v_cmp_lt_u32_e32 vcc, 1, v12
	s_nop 0
	v_mov_b32_dpp v16, v4 row_shr:2 row_mask:0xf bank_mask:0xf
	v_cndmask_b32_e32 v12, 0, v16, vcc
	v_add_u32_e32 v4, v4, v12
	ds_write_b32 v5, v4
.LBB51_8:
	s_or_b64 exec, exec, s[0:1]
	v_lshlrev_b32_e32 v4, 1, v10
	v_bfe_u32 v10, v10, 4, 27
	v_lshrrev_b32_e32 v16, 5, v7
	v_lshrrev_b32_e32 v12, 5, v8
	v_cmp_lt_u32_e32 vcc, 63, v0
	v_mov_b32_e32 v0, 0
	s_waitcnt lgkmcnt(0)
	s_barrier
	s_and_saveexec_b64 s[0:1], vcc
; %bb.9:
	v_lshl_add_u32 v0, v2, 2, -4
	ds_read_b32 v0, v0
; %bb.10:
	s_or_b64 exec, exec, s[0:1]
	v_subrev_co_u32_e32 v2, vcc, 1, v9
	v_and_b32_e32 v17, 64, v9
	v_cmp_lt_i32_e64 s[0:1], v2, v17
	v_cndmask_b32_e64 v2, v2, v9, s[0:1]
	s_waitcnt lgkmcnt(0)
	v_add_u32_e32 v1, v0, v1
	v_lshlrev_b32_e32 v2, 2, v2
	ds_bpermute_b32 v1, v2, v1
	v_lshlrev_b32_e32 v2, 2, v7
	v_lshl_add_u32 v2, v16, 2, v2
	s_lshl_b64 s[0:1], s[6:7], 2
	s_add_u32 s0, s2, s0
	s_waitcnt lgkmcnt(0)
	v_cndmask_b32_e32 v0, v1, v0, vcc
	ds_write_b32 v5, v0 offset:16
	s_waitcnt lgkmcnt(0)
	s_barrier
	ds_read_b32 v0, v11 offset:16
	ds_read_b32 v1, v15 offset:16
	s_waitcnt lgkmcnt(0)
	s_barrier
	v_add_u32_e32 v0, v0, v13
	ds_write_b32 v2, v0
	v_lshlrev_b32_e32 v0, 2, v8
	v_add3_u32 v1, v3, v14, v1
	v_lshl_add_u32 v0, v12, 2, v0
	ds_write_b32 v0, v1
	v_add_lshl_u32 v0, v10, v4, 2
	; wave barrier
	ds_read2_b32 v[0:1], v0 offset1:1
	s_addc_u32 s1, s3, s1
	v_lshlrev_b32_e32 v2, 2, v6
	s_waitcnt lgkmcnt(0)
	global_store_dwordx2 v2, v[0:1], s[0:1]
	s_endpgm
	.section	.rodata,"a",@progbits
	.p2align	6, 0x0
	.amdhsa_kernel _Z11rank_kernelILj193ELj2ELj4ELb1EL18RadixRankAlgorithm2E6__halfEvPKT4_Pijj
		.amdhsa_group_segment_fixed_size 1600
		.amdhsa_private_segment_fixed_size 0
		.amdhsa_kernarg_size 280
		.amdhsa_user_sgpr_count 6
		.amdhsa_user_sgpr_private_segment_buffer 1
		.amdhsa_user_sgpr_dispatch_ptr 0
		.amdhsa_user_sgpr_queue_ptr 0
		.amdhsa_user_sgpr_kernarg_segment_ptr 1
		.amdhsa_user_sgpr_dispatch_id 0
		.amdhsa_user_sgpr_flat_scratch_init 0
		.amdhsa_user_sgpr_private_segment_size 0
		.amdhsa_uses_dynamic_stack 0
		.amdhsa_system_sgpr_private_segment_wavefront_offset 0
		.amdhsa_system_sgpr_workgroup_id_x 1
		.amdhsa_system_sgpr_workgroup_id_y 0
		.amdhsa_system_sgpr_workgroup_id_z 0
		.amdhsa_system_sgpr_workgroup_info 0
		.amdhsa_system_vgpr_workitem_id 2
		.amdhsa_next_free_vgpr 19
		.amdhsa_next_free_sgpr 14
		.amdhsa_reserve_vcc 1
		.amdhsa_reserve_flat_scratch 0
		.amdhsa_float_round_mode_32 0
		.amdhsa_float_round_mode_16_64 0
		.amdhsa_float_denorm_mode_32 3
		.amdhsa_float_denorm_mode_16_64 3
		.amdhsa_dx10_clamp 1
		.amdhsa_ieee_mode 1
		.amdhsa_fp16_overflow 0
		.amdhsa_exception_fp_ieee_invalid_op 0
		.amdhsa_exception_fp_denorm_src 0
		.amdhsa_exception_fp_ieee_div_zero 0
		.amdhsa_exception_fp_ieee_overflow 0
		.amdhsa_exception_fp_ieee_underflow 0
		.amdhsa_exception_fp_ieee_inexact 0
		.amdhsa_exception_int_div_zero 0
	.end_amdhsa_kernel
	.section	.text._Z11rank_kernelILj193ELj2ELj4ELb1EL18RadixRankAlgorithm2E6__halfEvPKT4_Pijj,"axG",@progbits,_Z11rank_kernelILj193ELj2ELj4ELb1EL18RadixRankAlgorithm2E6__halfEvPKT4_Pijj,comdat
.Lfunc_end51:
	.size	_Z11rank_kernelILj193ELj2ELj4ELb1EL18RadixRankAlgorithm2E6__halfEvPKT4_Pijj, .Lfunc_end51-_Z11rank_kernelILj193ELj2ELj4ELb1EL18RadixRankAlgorithm2E6__halfEvPKT4_Pijj
                                        ; -- End function
	.set _Z11rank_kernelILj193ELj2ELj4ELb1EL18RadixRankAlgorithm2E6__halfEvPKT4_Pijj.num_vgpr, 19
	.set _Z11rank_kernelILj193ELj2ELj4ELb1EL18RadixRankAlgorithm2E6__halfEvPKT4_Pijj.num_agpr, 0
	.set _Z11rank_kernelILj193ELj2ELj4ELb1EL18RadixRankAlgorithm2E6__halfEvPKT4_Pijj.numbered_sgpr, 14
	.set _Z11rank_kernelILj193ELj2ELj4ELb1EL18RadixRankAlgorithm2E6__halfEvPKT4_Pijj.num_named_barrier, 0
	.set _Z11rank_kernelILj193ELj2ELj4ELb1EL18RadixRankAlgorithm2E6__halfEvPKT4_Pijj.private_seg_size, 0
	.set _Z11rank_kernelILj193ELj2ELj4ELb1EL18RadixRankAlgorithm2E6__halfEvPKT4_Pijj.uses_vcc, 1
	.set _Z11rank_kernelILj193ELj2ELj4ELb1EL18RadixRankAlgorithm2E6__halfEvPKT4_Pijj.uses_flat_scratch, 0
	.set _Z11rank_kernelILj193ELj2ELj4ELb1EL18RadixRankAlgorithm2E6__halfEvPKT4_Pijj.has_dyn_sized_stack, 0
	.set _Z11rank_kernelILj193ELj2ELj4ELb1EL18RadixRankAlgorithm2E6__halfEvPKT4_Pijj.has_recursion, 0
	.set _Z11rank_kernelILj193ELj2ELj4ELb1EL18RadixRankAlgorithm2E6__halfEvPKT4_Pijj.has_indirect_call, 0
	.section	.AMDGPU.csdata,"",@progbits
; Kernel info:
; codeLenInByte = 1388
; TotalNumSgprs: 18
; NumVgprs: 19
; ScratchSize: 0
; MemoryBound: 0
; FloatMode: 240
; IeeeMode: 1
; LDSByteSize: 1600 bytes/workgroup (compile time only)
; SGPRBlocks: 2
; VGPRBlocks: 4
; NumSGPRsForWavesPerEU: 18
; NumVGPRsForWavesPerEU: 19
; Occupancy: 10
; WaveLimiterHint : 0
; COMPUTE_PGM_RSRC2:SCRATCH_EN: 0
; COMPUTE_PGM_RSRC2:USER_SGPR: 6
; COMPUTE_PGM_RSRC2:TRAP_HANDLER: 0
; COMPUTE_PGM_RSRC2:TGID_X_EN: 1
; COMPUTE_PGM_RSRC2:TGID_Y_EN: 0
; COMPUTE_PGM_RSRC2:TGID_Z_EN: 0
; COMPUTE_PGM_RSRC2:TIDIG_COMP_CNT: 2
	.section	.text._Z11rank_kernelILj162ELj2ELj6ELb1EL18RadixRankAlgorithm2EjEvPKT4_Pijj,"axG",@progbits,_Z11rank_kernelILj162ELj2ELj6ELb1EL18RadixRankAlgorithm2EjEvPKT4_Pijj,comdat
	.protected	_Z11rank_kernelILj162ELj2ELj6ELb1EL18RadixRankAlgorithm2EjEvPKT4_Pijj ; -- Begin function _Z11rank_kernelILj162ELj2ELj6ELb1EL18RadixRankAlgorithm2EjEvPKT4_Pijj
	.globl	_Z11rank_kernelILj162ELj2ELj6ELb1EL18RadixRankAlgorithm2EjEvPKT4_Pijj
	.p2align	8
	.type	_Z11rank_kernelILj162ELj2ELj6ELb1EL18RadixRankAlgorithm2EjEvPKT4_Pijj,@function
_Z11rank_kernelILj162ELj2ELj6ELb1EL18RadixRankAlgorithm2EjEvPKT4_Pijj: ; @_Z11rank_kernelILj162ELj2ELj6ELb1EL18RadixRankAlgorithm2EjEvPKT4_Pijj
; %bb.0:
	s_load_dwordx4 s[0:3], s[4:5], 0x0
	s_load_dwordx2 s[8:9], s[4:5], 0x10
	s_mulk_i32 s6, 0x144
	s_mov_b32 s7, 0
	s_lshl_b64 s[6:7], s[6:7], 2
	s_waitcnt lgkmcnt(0)
	s_add_u32 s0, s0, s6
	s_addc_u32 s1, s1, s7
	v_lshlrev_b32_e32 v6, 3, v0
	global_load_dwordx2 v[12:13], v6, s[0:1]
	s_load_dword s4, s[4:5], 0x24
	v_mbcnt_lo_u32_b32 v4, -1, 0
	s_movk_i32 s0, 0x80
	v_and_b32_e32 v11, 0xc0, v0
	s_movk_i32 s1, 0x180
	v_lshlrev_b32_e32 v5, 1, v0
	v_mbcnt_hi_u32_b32 v10, -1, v4
	v_cmp_eq_u32_e32 vcc, s0, v11
	s_waitcnt lgkmcnt(0)
	s_lshr_b32 s0, s4, 16
	v_and_or_b32 v8, v5, s1, v10
	s_and_b32 s1, s4, 0xffff
	v_mad_u32_u24 v1, v2, s0, v1
	v_mad_u64_u32 v[1:2], s[0:1], v1, s1, v[0:1]
	v_add_u32_e32 v4, v10, v11
	v_cndmask_b32_e64 v7, 64, 34, vcc
	v_lshlrev_b32_e32 v9, 1, v4
	v_bfe_u32 v4, v4, 4, 27
	v_lshrrev_b32_e32 v14, 3, v8
	v_add_u32_e32 v15, v8, v7
	v_add_lshl_u32 v7, v4, v9, 2
	v_and_b32_e32 v4, 60, v14
	v_lshrrev_b32_e32 v9, 3, v15
	v_lshl_add_u32 v8, v8, 2, v4
	v_and_b32_e32 v4, 0x7c, v9
	s_and_b32 s9, s9, 31
	v_lshrrev_b32_e32 v1, 4, v1
	v_lshl_add_u32 v9, v15, 2, v4
	s_cmp_eq_u32 s9, 0
	v_and_b32_e32 v14, 0xffffffc, v1
	s_cselect_b64 s[4:5], -1, 0
	s_and_b32 s0, s8, 31
	s_add_i32 s0, s0, s9
	s_sub_i32 s8, 32, s9
	s_sub_i32 s9, 32, s0
	v_mov_b32_e32 v3, 0
	s_waitcnt vmcnt(0)
	ds_write2_b32 v7, v12, v13 offset1:1
	; wave barrier
	ds_read_b32 v1, v8
	ds_read_b32 v15, v9
	s_waitcnt lgkmcnt(0)
	s_barrier
	v_lshlrev_b32_e32 v1, s9, v1
	v_lshrrev_b32_e32 v1, s8, v1
	v_xor_b32_e32 v1, 63, v1
	v_cndmask_b32_e64 v1, v1, 63, s[4:5]
	v_and_b32_e32 v2, 1, v1
	v_add_co_u32_e32 v12, vcc, -1, v2
	v_lshlrev_b32_e32 v4, 30, v1
	v_addc_co_u32_e64 v16, s[0:1], 0, -1, vcc
	v_cmp_ne_u32_e32 vcc, 0, v2
	v_cmp_gt_i64_e64 s[0:1], 0, v[3:4]
	v_not_b32_e32 v2, v4
	v_lshlrev_b32_e32 v4, 29, v1
	v_xor_b32_e32 v16, vcc_hi, v16
	v_ashrrev_i32_e32 v2, 31, v2
	v_xor_b32_e32 v12, vcc_lo, v12
	v_cmp_gt_i64_e32 vcc, 0, v[3:4]
	v_not_b32_e32 v17, v4
	v_lshlrev_b32_e32 v4, 28, v1
	v_and_b32_e32 v16, exec_hi, v16
	v_xor_b32_e32 v18, s1, v2
	v_and_b32_e32 v12, exec_lo, v12
	v_xor_b32_e32 v2, s0, v2
	v_ashrrev_i32_e32 v17, 31, v17
	v_cmp_gt_i64_e64 s[0:1], 0, v[3:4]
	v_and_b32_e32 v16, v16, v18
	v_not_b32_e32 v18, v4
	v_lshlrev_b32_e32 v4, 27, v1
	v_and_b32_e32 v2, v12, v2
	v_xor_b32_e32 v12, vcc_hi, v17
	v_xor_b32_e32 v17, vcc_lo, v17
	v_ashrrev_i32_e32 v18, 31, v18
	v_cmp_gt_i64_e32 vcc, 0, v[3:4]
	v_not_b32_e32 v4, v4
	v_and_b32_e32 v12, v16, v12
	v_and_b32_e32 v2, v2, v17
	v_xor_b32_e32 v16, s1, v18
	v_xor_b32_e32 v17, s0, v18
	v_ashrrev_i32_e32 v4, 31, v4
	v_and_b32_e32 v12, v12, v16
	v_and_b32_e32 v2, v2, v17
	v_xor_b32_e32 v16, vcc_hi, v4
	v_xor_b32_e32 v4, vcc_lo, v4
	v_and_b32_e32 v12, v12, v16
	v_and_b32_e32 v16, v2, v4
	v_lshlrev_b32_e32 v4, 26, v1
	v_mul_lo_u32 v13, v1, 12
	v_cmp_gt_i64_e32 vcc, 0, v[3:4]
	v_not_b32_e32 v1, v4
	v_ashrrev_i32_e32 v1, 31, v1
	v_xor_b32_e32 v2, vcc_hi, v1
	v_xor_b32_e32 v1, vcc_lo, v1
	v_and_b32_e32 v1, v16, v1
	v_and_b32_e32 v2, v12, v2
	v_mbcnt_lo_u32_b32 v4, v1, 0
	v_mbcnt_hi_u32_b32 v12, v2, v4
	v_cmp_ne_u64_e32 vcc, 0, v[1:2]
	v_cmp_eq_u32_e64 s[0:1], 0, v12
	s_and_b64 s[10:11], vcc, s[0:1]
	v_add_u32_e32 v13, v14, v13
	ds_write2_b32 v6, v3, v3 offset0:3 offset1:4
	s_waitcnt lgkmcnt(0)
	s_barrier
	; wave barrier
	s_and_saveexec_b64 s[0:1], s[10:11]
; %bb.1:
	v_bcnt_u32_b32 v1, v1, 0
	v_bcnt_u32_b32 v1, v2, v1
	ds_write_b32 v13, v1 offset:12
; %bb.2:
	s_or_b64 exec, exec, s[0:1]
	v_lshlrev_b32_e32 v1, s9, v15
	v_lshrrev_b32_e32 v1, s8, v1
	v_xor_b32_e32 v1, 63, v1
	v_cndmask_b32_e64 v1, v1, 63, s[4:5]
	v_mul_lo_u32 v2, v1, 12
	v_and_b32_e32 v4, 1, v1
	; wave barrier
	v_add_u32_e32 v15, v14, v2
	v_add_co_u32_e32 v2, vcc, -1, v4
	v_addc_co_u32_e64 v16, s[0:1], 0, -1, vcc
	v_cmp_ne_u32_e32 vcc, 0, v4
	v_xor_b32_e32 v4, vcc_hi, v16
	v_and_b32_e32 v16, exec_hi, v4
	v_lshlrev_b32_e32 v4, 30, v1
	v_xor_b32_e32 v2, vcc_lo, v2
	v_cmp_gt_i64_e32 vcc, 0, v[3:4]
	v_not_b32_e32 v4, v4
	v_ashrrev_i32_e32 v4, 31, v4
	v_and_b32_e32 v2, exec_lo, v2
	v_xor_b32_e32 v17, vcc_hi, v4
	v_xor_b32_e32 v4, vcc_lo, v4
	v_and_b32_e32 v2, v2, v4
	v_lshlrev_b32_e32 v4, 29, v1
	v_cmp_gt_i64_e32 vcc, 0, v[3:4]
	v_not_b32_e32 v4, v4
	v_ashrrev_i32_e32 v4, 31, v4
	v_and_b32_e32 v16, v16, v17
	v_xor_b32_e32 v17, vcc_hi, v4
	v_xor_b32_e32 v4, vcc_lo, v4
	v_and_b32_e32 v2, v2, v4
	v_lshlrev_b32_e32 v4, 28, v1
	v_cmp_gt_i64_e32 vcc, 0, v[3:4]
	v_not_b32_e32 v4, v4
	v_ashrrev_i32_e32 v4, 31, v4
	v_and_b32_e32 v16, v16, v17
	;; [unrolled: 8-line block ×3, first 2 shown]
	v_xor_b32_e32 v17, vcc_hi, v4
	v_xor_b32_e32 v4, vcc_lo, v4
	v_and_b32_e32 v16, v16, v17
	v_and_b32_e32 v17, v2, v4
	v_lshlrev_b32_e32 v4, 26, v1
	v_cmp_gt_i64_e32 vcc, 0, v[3:4]
	v_not_b32_e32 v1, v4
	v_ashrrev_i32_e32 v1, 31, v1
	v_xor_b32_e32 v2, vcc_hi, v1
	v_xor_b32_e32 v1, vcc_lo, v1
	ds_read_b32 v14, v15 offset:12
	v_and_b32_e32 v1, v17, v1
	v_and_b32_e32 v2, v16, v2
	v_mbcnt_lo_u32_b32 v3, v1, 0
	v_mbcnt_hi_u32_b32 v3, v2, v3
	v_cmp_ne_u64_e32 vcc, 0, v[1:2]
	v_cmp_eq_u32_e64 s[0:1], 0, v3
	s_and_b64 s[4:5], vcc, s[0:1]
	; wave barrier
	s_and_saveexec_b64 s[0:1], s[4:5]
	s_cbranch_execz .LBB52_4
; %bb.3:
	v_bcnt_u32_b32 v1, v1, 0
	v_bcnt_u32_b32 v1, v2, v1
	s_waitcnt lgkmcnt(0)
	v_add_u32_e32 v1, v14, v1
	ds_write_b32 v15, v1 offset:12
.LBB52_4:
	s_or_b64 exec, exec, s[0:1]
	; wave barrier
	s_waitcnt lgkmcnt(0)
	s_barrier
	ds_read2_b32 v[1:2], v6 offset0:3 offset1:4
	v_and_b32_e32 v4, 15, v10
	v_cmp_ne_u32_e32 vcc, 0, v4
	v_min_u32_e32 v11, 0x62, v11
	v_add_u32_e32 v11, 63, v11
	s_waitcnt lgkmcnt(0)
	v_add_u32_e32 v2, v2, v1
	s_nop 1
	v_mov_b32_dpp v16, v2 row_shr:1 row_mask:0xf bank_mask:0xf
	v_cndmask_b32_e32 v16, 0, v16, vcc
	v_add_u32_e32 v2, v16, v2
	v_cmp_lt_u32_e32 vcc, 1, v4
	s_nop 0
	v_mov_b32_dpp v16, v2 row_shr:2 row_mask:0xf bank_mask:0xf
	v_cndmask_b32_e32 v16, 0, v16, vcc
	v_add_u32_e32 v2, v2, v16
	v_cmp_lt_u32_e32 vcc, 3, v4
	;; [unrolled: 5-line block ×3, first 2 shown]
	s_nop 0
	v_mov_b32_dpp v16, v2 row_shr:8 row_mask:0xf bank_mask:0xf
	v_cndmask_b32_e32 v4, 0, v16, vcc
	v_add_u32_e32 v2, v2, v4
	v_bfe_i32 v16, v10, 4, 1
	v_cmp_lt_u32_e32 vcc, 31, v10
	v_mov_b32_dpp v4, v2 row_bcast:15 row_mask:0xf bank_mask:0xf
	v_and_b32_e32 v4, v16, v4
	v_add_u32_e32 v2, v2, v4
	s_nop 1
	v_mov_b32_dpp v4, v2 row_bcast:31 row_mask:0xf bank_mask:0xf
	v_cndmask_b32_e32 v4, 0, v4, vcc
	v_add_u32_e32 v2, v2, v4
	v_lshrrev_b32_e32 v4, 6, v0
	v_cmp_eq_u32_e32 vcc, v0, v11
	s_and_saveexec_b64 s[0:1], vcc
; %bb.5:
	v_lshlrev_b32_e32 v11, 2, v4
	ds_write_b32 v11, v2
; %bb.6:
	s_or_b64 exec, exec, s[0:1]
	v_cmp_gt_u32_e32 vcc, 3, v0
	s_waitcnt lgkmcnt(0)
	s_barrier
	s_and_saveexec_b64 s[0:1], vcc
	s_cbranch_execz .LBB52_8
; %bb.7:
	v_lshlrev_b32_e32 v11, 2, v0
	v_sub_u32_e32 v11, v6, v11
	ds_read_b32 v16, v11
	v_and_b32_e32 v17, 3, v10
	v_cmp_ne_u32_e32 vcc, 0, v17
	s_waitcnt lgkmcnt(0)
	v_mov_b32_dpp v18, v16 row_shr:1 row_mask:0xf bank_mask:0xf
	v_cndmask_b32_e32 v18, 0, v18, vcc
	v_add_u32_e32 v16, v18, v16
	v_cmp_lt_u32_e32 vcc, 1, v17
	s_nop 0
	v_mov_b32_dpp v18, v16 row_shr:2 row_mask:0xf bank_mask:0xf
	v_cndmask_b32_e32 v17, 0, v18, vcc
	v_add_u32_e32 v16, v16, v17
	ds_write_b32 v11, v16
.LBB52_8:
	s_or_b64 exec, exec, s[0:1]
	v_cmp_lt_u32_e32 vcc, 63, v0
	v_mov_b32_e32 v11, 0
	s_waitcnt lgkmcnt(0)
	s_barrier
	s_and_saveexec_b64 s[0:1], vcc
; %bb.9:
	v_lshl_add_u32 v4, v4, 2, -4
	ds_read_b32 v11, v4
; %bb.10:
	s_or_b64 exec, exec, s[0:1]
	v_subrev_co_u32_e32 v4, vcc, 1, v10
	v_and_b32_e32 v16, 64, v10
	v_cmp_lt_i32_e64 s[0:1], v4, v16
	v_cndmask_b32_e64 v4, v4, v10, s[0:1]
	s_waitcnt lgkmcnt(0)
	v_add_u32_e32 v2, v11, v2
	v_lshlrev_b32_e32 v4, 2, v4
	ds_bpermute_b32 v2, v4, v2
	s_add_u32 s0, s2, s6
	s_addc_u32 s1, s3, s7
	s_waitcnt lgkmcnt(0)
	v_cndmask_b32_e32 v2, v2, v11, vcc
	v_cmp_ne_u32_e32 vcc, 0, v0
	v_cndmask_b32_e32 v0, 0, v2, vcc
	v_add_u32_e32 v1, v0, v1
	ds_write2_b32 v6, v0, v1 offset0:3 offset1:4
	s_waitcnt lgkmcnt(0)
	s_barrier
	ds_read_b32 v0, v13 offset:12
	ds_read_b32 v1, v15 offset:12
	s_waitcnt lgkmcnt(0)
	s_barrier
	v_add_u32_e32 v0, v0, v12
	v_add3_u32 v1, v3, v14, v1
	ds_write_b32 v8, v0
	ds_write_b32 v9, v1
	; wave barrier
	ds_read2_b32 v[0:1], v7 offset1:1
	v_lshlrev_b32_e32 v2, 2, v5
	s_waitcnt lgkmcnt(0)
	global_store_dwordx2 v2, v[0:1], s[0:1]
	s_endpgm
	.section	.rodata,"a",@progbits
	.p2align	6, 0x0
	.amdhsa_kernel _Z11rank_kernelILj162ELj2ELj6ELb1EL18RadixRankAlgorithm2EjEvPKT4_Pijj
		.amdhsa_group_segment_fixed_size 1344
		.amdhsa_private_segment_fixed_size 0
		.amdhsa_kernarg_size 280
		.amdhsa_user_sgpr_count 6
		.amdhsa_user_sgpr_private_segment_buffer 1
		.amdhsa_user_sgpr_dispatch_ptr 0
		.amdhsa_user_sgpr_queue_ptr 0
		.amdhsa_user_sgpr_kernarg_segment_ptr 1
		.amdhsa_user_sgpr_dispatch_id 0
		.amdhsa_user_sgpr_flat_scratch_init 0
		.amdhsa_user_sgpr_private_segment_size 0
		.amdhsa_uses_dynamic_stack 0
		.amdhsa_system_sgpr_private_segment_wavefront_offset 0
		.amdhsa_system_sgpr_workgroup_id_x 1
		.amdhsa_system_sgpr_workgroup_id_y 0
		.amdhsa_system_sgpr_workgroup_id_z 0
		.amdhsa_system_sgpr_workgroup_info 0
		.amdhsa_system_vgpr_workitem_id 2
		.amdhsa_next_free_vgpr 19
		.amdhsa_next_free_sgpr 12
		.amdhsa_reserve_vcc 1
		.amdhsa_reserve_flat_scratch 0
		.amdhsa_float_round_mode_32 0
		.amdhsa_float_round_mode_16_64 0
		.amdhsa_float_denorm_mode_32 3
		.amdhsa_float_denorm_mode_16_64 3
		.amdhsa_dx10_clamp 1
		.amdhsa_ieee_mode 1
		.amdhsa_fp16_overflow 0
		.amdhsa_exception_fp_ieee_invalid_op 0
		.amdhsa_exception_fp_denorm_src 0
		.amdhsa_exception_fp_ieee_div_zero 0
		.amdhsa_exception_fp_ieee_overflow 0
		.amdhsa_exception_fp_ieee_underflow 0
		.amdhsa_exception_fp_ieee_inexact 0
		.amdhsa_exception_int_div_zero 0
	.end_amdhsa_kernel
	.section	.text._Z11rank_kernelILj162ELj2ELj6ELb1EL18RadixRankAlgorithm2EjEvPKT4_Pijj,"axG",@progbits,_Z11rank_kernelILj162ELj2ELj6ELb1EL18RadixRankAlgorithm2EjEvPKT4_Pijj,comdat
.Lfunc_end52:
	.size	_Z11rank_kernelILj162ELj2ELj6ELb1EL18RadixRankAlgorithm2EjEvPKT4_Pijj, .Lfunc_end52-_Z11rank_kernelILj162ELj2ELj6ELb1EL18RadixRankAlgorithm2EjEvPKT4_Pijj
                                        ; -- End function
	.set _Z11rank_kernelILj162ELj2ELj6ELb1EL18RadixRankAlgorithm2EjEvPKT4_Pijj.num_vgpr, 19
	.set _Z11rank_kernelILj162ELj2ELj6ELb1EL18RadixRankAlgorithm2EjEvPKT4_Pijj.num_agpr, 0
	.set _Z11rank_kernelILj162ELj2ELj6ELb1EL18RadixRankAlgorithm2EjEvPKT4_Pijj.numbered_sgpr, 12
	.set _Z11rank_kernelILj162ELj2ELj6ELb1EL18RadixRankAlgorithm2EjEvPKT4_Pijj.num_named_barrier, 0
	.set _Z11rank_kernelILj162ELj2ELj6ELb1EL18RadixRankAlgorithm2EjEvPKT4_Pijj.private_seg_size, 0
	.set _Z11rank_kernelILj162ELj2ELj6ELb1EL18RadixRankAlgorithm2EjEvPKT4_Pijj.uses_vcc, 1
	.set _Z11rank_kernelILj162ELj2ELj6ELb1EL18RadixRankAlgorithm2EjEvPKT4_Pijj.uses_flat_scratch, 0
	.set _Z11rank_kernelILj162ELj2ELj6ELb1EL18RadixRankAlgorithm2EjEvPKT4_Pijj.has_dyn_sized_stack, 0
	.set _Z11rank_kernelILj162ELj2ELj6ELb1EL18RadixRankAlgorithm2EjEvPKT4_Pijj.has_recursion, 0
	.set _Z11rank_kernelILj162ELj2ELj6ELb1EL18RadixRankAlgorithm2EjEvPKT4_Pijj.has_indirect_call, 0
	.section	.AMDGPU.csdata,"",@progbits
; Kernel info:
; codeLenInByte = 1440
; TotalNumSgprs: 16
; NumVgprs: 19
; ScratchSize: 0
; MemoryBound: 0
; FloatMode: 240
; IeeeMode: 1
; LDSByteSize: 1344 bytes/workgroup (compile time only)
; SGPRBlocks: 1
; VGPRBlocks: 4
; NumSGPRsForWavesPerEU: 16
; NumVGPRsForWavesPerEU: 19
; Occupancy: 10
; WaveLimiterHint : 0
; COMPUTE_PGM_RSRC2:SCRATCH_EN: 0
; COMPUTE_PGM_RSRC2:USER_SGPR: 6
; COMPUTE_PGM_RSRC2:TRAP_HANDLER: 0
; COMPUTE_PGM_RSRC2:TGID_X_EN: 1
; COMPUTE_PGM_RSRC2:TGID_Y_EN: 0
; COMPUTE_PGM_RSRC2:TGID_Z_EN: 0
; COMPUTE_PGM_RSRC2:TIDIG_COMP_CNT: 2
	.section	.text._Z11rank_kernelILj60ELj1ELj3ELb1EL18RadixRankAlgorithm2EfEvPKT4_Pijj,"axG",@progbits,_Z11rank_kernelILj60ELj1ELj3ELb1EL18RadixRankAlgorithm2EfEvPKT4_Pijj,comdat
	.protected	_Z11rank_kernelILj60ELj1ELj3ELb1EL18RadixRankAlgorithm2EfEvPKT4_Pijj ; -- Begin function _Z11rank_kernelILj60ELj1ELj3ELb1EL18RadixRankAlgorithm2EfEvPKT4_Pijj
	.globl	_Z11rank_kernelILj60ELj1ELj3ELb1EL18RadixRankAlgorithm2EfEvPKT4_Pijj
	.p2align	8
	.type	_Z11rank_kernelILj60ELj1ELj3ELb1EL18RadixRankAlgorithm2EfEvPKT4_Pijj,@function
_Z11rank_kernelILj60ELj1ELj3ELb1EL18RadixRankAlgorithm2EfEvPKT4_Pijj: ; @_Z11rank_kernelILj60ELj1ELj3ELb1EL18RadixRankAlgorithm2EfEvPKT4_Pijj
; %bb.0:
	s_load_dwordx4 s[0:3], s[4:5], 0x0
	s_load_dwordx2 s[8:9], s[4:5], 0x10
	s_mul_i32 s6, s6, 60
	s_mov_b32 s7, 0
	s_lshl_b64 s[6:7], s[6:7], 2
	s_waitcnt lgkmcnt(0)
	s_add_u32 s0, s0, s6
	s_addc_u32 s1, s1, s7
	v_lshlrev_b32_e32 v3, 2, v0
	global_load_dword v6, v3, s[0:1]
	s_load_dword s0, s[4:5], 0x24
	v_mbcnt_lo_u32_b32 v4, -1, 0
	v_mbcnt_hi_u32_b32 v5, -1, v4
	v_lshlrev_b32_e32 v4, 2, v5
	v_bfrev_b32_e32 v8, 1
	s_waitcnt lgkmcnt(0)
	s_lshr_b32 s4, s0, 16
	v_mad_u32_u24 v1, v2, s4, v1
	s_brev_b32 s1, -2
	s_and_b32 s5, s9, 31
	s_and_b32 s8, s8, 31
	;; [unrolled: 1-line block ×3, first 2 shown]
	s_add_i32 s8, s8, s5
	v_mad_u32_u24 v1, v1, s0, v0
	s_sub_i32 s0, 32, s8
	s_sub_i32 s4, 32, s5
	s_cmp_lg_u32 s5, 0
	v_lshrrev_b32_e32 v1, 4, v1
	v_and_b32_e32 v1, 0xffffffc, v1
	v_mov_b32_e32 v7, 0
	s_waitcnt vmcnt(0)
	ds_write_b32 v4, v6
	; wave barrier
	ds_read_b32 v2, v4
	s_waitcnt lgkmcnt(0)
	; wave barrier
	ds_write_b32 v3, v7 offset:4
	s_waitcnt lgkmcnt(0)
	v_cmp_lt_i32_e32 vcc, -1, v2
	v_cndmask_b32_e32 v6, -1, v8, vcc
	v_xor_b32_e32 v2, v6, v2
	v_cmp_ne_u32_e32 vcc, s1, v2
	v_cndmask_b32_e32 v2, v8, v2, vcc
	v_lshlrev_b32_e32 v2, s0, v2
	v_lshrrev_b32_e32 v2, s4, v2
	v_xor_b32_e32 v2, 7, v2
	s_cselect_b64 vcc, -1, 0
	v_cndmask_b32_e32 v2, 7, v2, vcc
	v_lshl_add_u32 v6, v2, 2, v1
	v_and_b32_e32 v1, 1, v2
	v_add_co_u32_e32 v9, vcc, -1, v1
	v_lshlrev_b32_e32 v8, 30, v2
	v_addc_co_u32_e64 v10, s[0:1], 0, -1, vcc
	v_cmp_ne_u32_e32 vcc, 0, v1
	v_cmp_gt_i64_e64 s[0:1], 0, v[7:8]
	v_not_b32_e32 v1, v8
	v_lshlrev_b32_e32 v8, 29, v2
	v_xor_b32_e32 v2, vcc_hi, v10
	v_xor_b32_e32 v9, vcc_lo, v9
	v_ashrrev_i32_e32 v1, 31, v1
	v_cmp_gt_i64_e32 vcc, 0, v[7:8]
	v_not_b32_e32 v7, v8
	v_and_b32_e32 v8, exec_lo, v9
	v_xor_b32_e32 v9, s1, v1
	v_xor_b32_e32 v1, s0, v1
	v_ashrrev_i32_e32 v7, 31, v7
	v_and_b32_e32 v2, exec_hi, v2
	v_and_b32_e32 v1, v8, v1
	v_xor_b32_e32 v8, vcc_hi, v7
	v_xor_b32_e32 v7, vcc_lo, v7
	v_and_b32_e32 v2, v2, v9
	v_and_b32_e32 v1, v1, v7
	v_and_b32_e32 v2, v2, v8
	v_mbcnt_lo_u32_b32 v7, v1, 0
	v_mbcnt_hi_u32_b32 v7, v2, v7
	v_cmp_ne_u64_e32 vcc, 0, v[1:2]
	v_cmp_eq_u32_e64 s[0:1], 0, v7
	s_and_b64 s[4:5], vcc, s[0:1]
	; wave barrier
	; wave barrier
	s_and_saveexec_b64 s[0:1], s[4:5]
; %bb.1:
	v_bcnt_u32_b32 v1, v1, 0
	v_bcnt_u32_b32 v1, v2, v1
	ds_write_b32 v6, v1 offset:4
; %bb.2:
	s_or_b64 exec, exec, s[0:1]
	; wave barrier
	s_waitcnt lgkmcnt(0)
	; wave barrier
	ds_read_b32 v1, v3 offset:4
	v_and_b32_e32 v2, 15, v5
	v_cmp_ne_u32_e32 vcc, 0, v2
	s_waitcnt lgkmcnt(0)
	v_mov_b32_dpp v8, v1 row_shr:1 row_mask:0xf bank_mask:0xf
	v_cndmask_b32_e32 v8, 0, v8, vcc
	v_add_u32_e32 v1, v8, v1
	v_cmp_lt_u32_e32 vcc, 1, v2
	s_nop 0
	v_mov_b32_dpp v8, v1 row_shr:2 row_mask:0xf bank_mask:0xf
	v_cndmask_b32_e32 v8, 0, v8, vcc
	v_add_u32_e32 v1, v1, v8
	v_cmp_lt_u32_e32 vcc, 3, v2
	s_nop 0
	;; [unrolled: 5-line block ×3, first 2 shown]
	v_mov_b32_dpp v8, v1 row_shr:8 row_mask:0xf bank_mask:0xf
	v_cndmask_b32_e32 v2, 0, v8, vcc
	v_add_u32_e32 v1, v1, v2
	v_bfe_i32 v8, v5, 4, 1
	v_cmp_lt_u32_e32 vcc, 31, v5
	v_mov_b32_dpp v2, v1 row_bcast:15 row_mask:0xf bank_mask:0xf
	v_and_b32_e32 v2, v8, v2
	v_add_u32_e32 v1, v1, v2
	s_nop 1
	v_mov_b32_dpp v2, v1 row_bcast:31 row_mask:0xf bank_mask:0xf
	v_cndmask_b32_e32 v2, 0, v2, vcc
	v_add_u32_e32 v1, v1, v2
	v_cmp_eq_u32_e32 vcc, 59, v0
	s_and_saveexec_b64 s[0:1], vcc
; %bb.3:
	v_mov_b32_e32 v0, 0
	ds_write_b32 v0, v1
; %bb.4:
	s_or_b64 exec, exec, s[0:1]
	v_subrev_co_u32_e32 v0, vcc, 1, v5
	v_and_b32_e32 v2, 64, v5
	v_cmp_lt_i32_e64 s[0:1], v0, v2
	v_cndmask_b32_e64 v0, v0, v5, s[0:1]
	v_lshlrev_b32_e32 v0, 2, v0
	ds_bpermute_b32 v0, v0, v1
	s_waitcnt lgkmcnt(0)
	; wave barrier
	s_add_u32 s0, s2, s6
	s_addc_u32 s1, s3, s7
	v_cndmask_b32_e64 v0, v0, 0, vcc
	ds_write_b32 v3, v0 offset:4
	s_waitcnt lgkmcnt(0)
	; wave barrier
	ds_read_b32 v0, v6 offset:4
	s_waitcnt lgkmcnt(0)
	; wave barrier
	v_add_u32_e32 v0, v0, v7
	ds_write_b32 v4, v0
	; wave barrier
	ds_read_b32 v0, v4
	s_waitcnt lgkmcnt(0)
	global_store_dword v3, v0, s[0:1]
	s_endpgm
	.section	.rodata,"a",@progbits
	.p2align	6, 0x0
	.amdhsa_kernel _Z11rank_kernelILj60ELj1ELj3ELb1EL18RadixRankAlgorithm2EfEvPKT4_Pijj
		.amdhsa_group_segment_fixed_size 256
		.amdhsa_private_segment_fixed_size 0
		.amdhsa_kernarg_size 280
		.amdhsa_user_sgpr_count 6
		.amdhsa_user_sgpr_private_segment_buffer 1
		.amdhsa_user_sgpr_dispatch_ptr 0
		.amdhsa_user_sgpr_queue_ptr 0
		.amdhsa_user_sgpr_kernarg_segment_ptr 1
		.amdhsa_user_sgpr_dispatch_id 0
		.amdhsa_user_sgpr_flat_scratch_init 0
		.amdhsa_user_sgpr_private_segment_size 0
		.amdhsa_uses_dynamic_stack 0
		.amdhsa_system_sgpr_private_segment_wavefront_offset 0
		.amdhsa_system_sgpr_workgroup_id_x 1
		.amdhsa_system_sgpr_workgroup_id_y 0
		.amdhsa_system_sgpr_workgroup_id_z 0
		.amdhsa_system_sgpr_workgroup_info 0
		.amdhsa_system_vgpr_workitem_id 2
		.amdhsa_next_free_vgpr 11
		.amdhsa_next_free_sgpr 10
		.amdhsa_reserve_vcc 1
		.amdhsa_reserve_flat_scratch 0
		.amdhsa_float_round_mode_32 0
		.amdhsa_float_round_mode_16_64 0
		.amdhsa_float_denorm_mode_32 3
		.amdhsa_float_denorm_mode_16_64 3
		.amdhsa_dx10_clamp 1
		.amdhsa_ieee_mode 1
		.amdhsa_fp16_overflow 0
		.amdhsa_exception_fp_ieee_invalid_op 0
		.amdhsa_exception_fp_denorm_src 0
		.amdhsa_exception_fp_ieee_div_zero 0
		.amdhsa_exception_fp_ieee_overflow 0
		.amdhsa_exception_fp_ieee_underflow 0
		.amdhsa_exception_fp_ieee_inexact 0
		.amdhsa_exception_int_div_zero 0
	.end_amdhsa_kernel
	.section	.text._Z11rank_kernelILj60ELj1ELj3ELb1EL18RadixRankAlgorithm2EfEvPKT4_Pijj,"axG",@progbits,_Z11rank_kernelILj60ELj1ELj3ELb1EL18RadixRankAlgorithm2EfEvPKT4_Pijj,comdat
.Lfunc_end53:
	.size	_Z11rank_kernelILj60ELj1ELj3ELb1EL18RadixRankAlgorithm2EfEvPKT4_Pijj, .Lfunc_end53-_Z11rank_kernelILj60ELj1ELj3ELb1EL18RadixRankAlgorithm2EfEvPKT4_Pijj
                                        ; -- End function
	.set _Z11rank_kernelILj60ELj1ELj3ELb1EL18RadixRankAlgorithm2EfEvPKT4_Pijj.num_vgpr, 11
	.set _Z11rank_kernelILj60ELj1ELj3ELb1EL18RadixRankAlgorithm2EfEvPKT4_Pijj.num_agpr, 0
	.set _Z11rank_kernelILj60ELj1ELj3ELb1EL18RadixRankAlgorithm2EfEvPKT4_Pijj.numbered_sgpr, 10
	.set _Z11rank_kernelILj60ELj1ELj3ELb1EL18RadixRankAlgorithm2EfEvPKT4_Pijj.num_named_barrier, 0
	.set _Z11rank_kernelILj60ELj1ELj3ELb1EL18RadixRankAlgorithm2EfEvPKT4_Pijj.private_seg_size, 0
	.set _Z11rank_kernelILj60ELj1ELj3ELb1EL18RadixRankAlgorithm2EfEvPKT4_Pijj.uses_vcc, 1
	.set _Z11rank_kernelILj60ELj1ELj3ELb1EL18RadixRankAlgorithm2EfEvPKT4_Pijj.uses_flat_scratch, 0
	.set _Z11rank_kernelILj60ELj1ELj3ELb1EL18RadixRankAlgorithm2EfEvPKT4_Pijj.has_dyn_sized_stack, 0
	.set _Z11rank_kernelILj60ELj1ELj3ELb1EL18RadixRankAlgorithm2EfEvPKT4_Pijj.has_recursion, 0
	.set _Z11rank_kernelILj60ELj1ELj3ELb1EL18RadixRankAlgorithm2EfEvPKT4_Pijj.has_indirect_call, 0
	.section	.AMDGPU.csdata,"",@progbits
; Kernel info:
; codeLenInByte = 712
; TotalNumSgprs: 14
; NumVgprs: 11
; ScratchSize: 0
; MemoryBound: 0
; FloatMode: 240
; IeeeMode: 1
; LDSByteSize: 256 bytes/workgroup (compile time only)
; SGPRBlocks: 1
; VGPRBlocks: 2
; NumSGPRsForWavesPerEU: 14
; NumVGPRsForWavesPerEU: 11
; Occupancy: 10
; WaveLimiterHint : 0
; COMPUTE_PGM_RSRC2:SCRATCH_EN: 0
; COMPUTE_PGM_RSRC2:USER_SGPR: 6
; COMPUTE_PGM_RSRC2:TRAP_HANDLER: 0
; COMPUTE_PGM_RSRC2:TGID_X_EN: 1
; COMPUTE_PGM_RSRC2:TGID_Y_EN: 0
; COMPUTE_PGM_RSRC2:TGID_Z_EN: 0
; COMPUTE_PGM_RSRC2:TIDIG_COMP_CNT: 2
	.section	.text._Z11rank_kernelILj102ELj3ELj3ELb1EL18RadixRankAlgorithm2EtEvPKT4_Pijj,"axG",@progbits,_Z11rank_kernelILj102ELj3ELj3ELb1EL18RadixRankAlgorithm2EtEvPKT4_Pijj,comdat
	.protected	_Z11rank_kernelILj102ELj3ELj3ELb1EL18RadixRankAlgorithm2EtEvPKT4_Pijj ; -- Begin function _Z11rank_kernelILj102ELj3ELj3ELb1EL18RadixRankAlgorithm2EtEvPKT4_Pijj
	.globl	_Z11rank_kernelILj102ELj3ELj3ELb1EL18RadixRankAlgorithm2EtEvPKT4_Pijj
	.p2align	8
	.type	_Z11rank_kernelILj102ELj3ELj3ELb1EL18RadixRankAlgorithm2EtEvPKT4_Pijj,@function
_Z11rank_kernelILj102ELj3ELj3ELb1EL18RadixRankAlgorithm2EtEvPKT4_Pijj: ; @_Z11rank_kernelILj102ELj3ELj3ELb1EL18RadixRankAlgorithm2EtEvPKT4_Pijj
; %bb.0:
	s_load_dwordx4 s[0:3], s[4:5], 0x0
	s_load_dwordx2 s[8:9], s[4:5], 0x10
	s_mulk_i32 s6, 0x132
	s_mov_b32 s7, 0
	s_lshl_b64 s[10:11], s[6:7], 1
	s_waitcnt lgkmcnt(0)
	s_add_u32 s0, s0, s10
	v_mul_u32_u24_e32 v5, 3, v0
	s_addc_u32 s1, s1, s11
	v_lshlrev_b32_e32 v3, 1, v5
	global_load_dword v4, v3, s[0:1]
	global_load_ushort v13, v3, s[0:1] offset:4
	s_load_dword s1, s[4:5], 0x24
	v_mbcnt_lo_u32_b32 v6, -1, 0
	s_movk_i32 s0, 0xc0
	v_mbcnt_hi_u32_b32 v6, -1, v6
	v_lshrrev_b32_e32 v9, 6, v0
	v_and_b32_e32 v12, 64, v0
	v_cmp_ne_u32_e32 vcc, 0, v12
	v_mad_u32_u24 v10, v9, s0, v6
	s_waitcnt lgkmcnt(0)
	s_lshr_b32 s0, s1, 16
	v_mul_u32_u24_e32 v7, 0xc0, v9
	v_cndmask_b32_e64 v8, 64, 38, vcc
	s_and_b32 s1, s1, 0xffff
	v_mad_u32_u24 v1, v2, s0, v1
	v_mad_u32_u24 v7, v6, 3, v7
	v_lshlrev_b32_e32 v14, 1, v10
	v_lshlrev_b32_e32 v15, 1, v8
	s_and_b32 s9, s9, 31
	v_mad_u32_u24 v1, v1, s1, v0
	v_lshlrev_b32_e32 v17, 1, v7
	v_add_u32_e32 v18, v14, v15
	s_cmp_eq_u32 s9, 0
	v_lshrrev_b32_e32 v1, 4, v1
	v_add_u32_e32 v19, v18, v15
	s_cselect_b64 s[4:5], -1, 0
	s_and_b32 s0, s8, 31
	v_and_b32_e32 v16, 0xffffffc, v1
	s_add_i32 s0, s0, s9
	s_sub_i32 s8, 32, s9
	s_sub_i32 s9, 32, s0
	v_mov_b32_e32 v3, 0
	v_lshlrev_b32_e32 v11, 2, v0
	s_waitcnt vmcnt(1)
	ds_write_b32 v17, v4
	s_waitcnt vmcnt(0)
	ds_write_b16 v17, v13 offset:4
	; wave barrier
	ds_read_u16 v1, v14
	ds_read_u16 v15, v18
	;; [unrolled: 1-line block ×3, first 2 shown]
	s_waitcnt lgkmcnt(0)
	s_barrier
	v_lshlrev_b32_e32 v1, s9, v1
	v_bfe_u32 v1, v1, s8, 16
	v_xor_b32_e32 v1, 7, v1
	v_cndmask_b32_e64 v1, v1, 7, s[4:5]
	v_and_b32_e32 v2, 1, v1
	v_add_co_u32_e32 v13, vcc, -1, v2
	v_lshlrev_b32_e32 v4, 30, v1
	v_addc_co_u32_e64 v18, s[0:1], 0, -1, vcc
	v_cmp_ne_u32_e32 vcc, 0, v2
	v_cmp_gt_i64_e64 s[0:1], 0, v[3:4]
	v_not_b32_e32 v2, v4
	v_lshlrev_b32_e32 v4, 29, v1
	v_mul_u32_u24_e32 v14, 12, v1
	v_xor_b32_e32 v1, vcc_hi, v18
	v_xor_b32_e32 v13, vcc_lo, v13
	v_ashrrev_i32_e32 v2, 31, v2
	v_cmp_gt_i64_e32 vcc, 0, v[3:4]
	v_not_b32_e32 v4, v4
	v_and_b32_e32 v1, exec_hi, v1
	v_and_b32_e32 v13, exec_lo, v13
	v_xor_b32_e32 v18, s1, v2
	v_xor_b32_e32 v2, s0, v2
	v_ashrrev_i32_e32 v4, 31, v4
	v_and_b32_e32 v1, v1, v18
	v_and_b32_e32 v13, v13, v2
	v_xor_b32_e32 v2, vcc_hi, v4
	v_xor_b32_e32 v4, vcc_lo, v4
	v_and_b32_e32 v2, v1, v2
	v_and_b32_e32 v1, v13, v4
	v_mbcnt_lo_u32_b32 v4, v1, 0
	v_cmp_ne_u64_e32 vcc, 0, v[1:2]
	v_mbcnt_hi_u32_b32 v13, v2, v4
	v_cmp_eq_u32_e64 s[0:1], 0, v13
	s_and_b64 s[10:11], vcc, s[0:1]
	v_add_u32_e32 v14, v16, v14
	ds_write_b32 v11, v3 offset:8
	s_waitcnt lgkmcnt(0)
	s_barrier
	; wave barrier
	s_and_saveexec_b64 s[0:1], s[10:11]
; %bb.1:
	v_bcnt_u32_b32 v1, v1, 0
	v_bcnt_u32_b32 v1, v2, v1
	ds_write_b32 v14, v1 offset:8
; %bb.2:
	s_or_b64 exec, exec, s[0:1]
	v_lshlrev_b32_sdwa v1, s9, v15 dst_sel:DWORD dst_unused:UNUSED_PAD src0_sel:DWORD src1_sel:WORD_0
	v_lshrrev_b32_e32 v1, s8, v1
	v_mov_b32_e32 v18, 7
	v_xor_b32_sdwa v1, v1, v18 dst_sel:DWORD dst_unused:UNUSED_PAD src0_sel:WORD_0 src1_sel:DWORD
	v_cndmask_b32_e64 v1, v1, 7, s[4:5]
	v_mad_u32_u24 v2, v1, 12, v16
	; wave barrier
	ds_read_b32 v15, v2 offset:8
	v_and_b32_e32 v2, 1, v1
	v_add_co_u32_e32 v4, vcc, -1, v2
	v_addc_co_u32_e64 v20, s[0:1], 0, -1, vcc
	v_cmp_ne_u32_e32 vcc, 0, v2
	v_xor_b32_e32 v4, vcc_lo, v4
	v_xor_b32_e32 v2, vcc_hi, v20
	v_and_b32_e32 v20, exec_lo, v4
	v_lshlrev_b32_e32 v4, 30, v1
	v_cmp_gt_i64_e32 vcc, 0, v[3:4]
	v_not_b32_e32 v4, v4
	v_ashrrev_i32_e32 v4, 31, v4
	v_xor_b32_e32 v21, vcc_hi, v4
	v_xor_b32_e32 v4, vcc_lo, v4
	v_and_b32_e32 v20, v20, v4
	v_lshlrev_b32_e32 v4, 29, v1
	v_mul_u32_u24_e32 v19, 12, v1
	v_cmp_gt_i64_e32 vcc, 0, v[3:4]
	v_not_b32_e32 v1, v4
	v_ashrrev_i32_e32 v1, 31, v1
	v_and_b32_e32 v2, exec_hi, v2
	v_xor_b32_e32 v3, vcc_hi, v1
	v_xor_b32_e32 v1, vcc_lo, v1
	v_and_b32_e32 v2, v2, v21
	v_and_b32_e32 v1, v20, v1
	v_and_b32_e32 v2, v2, v3
	v_mbcnt_lo_u32_b32 v3, v1, 0
	v_mbcnt_hi_u32_b32 v3, v2, v3
	v_cmp_ne_u64_e32 vcc, 0, v[1:2]
	v_cmp_eq_u32_e64 s[0:1], 0, v3
	s_and_b64 s[10:11], vcc, s[0:1]
	v_add_u32_e32 v4, v16, v19
	; wave barrier
	s_and_saveexec_b64 s[0:1], s[10:11]
	s_cbranch_execz .LBB54_4
; %bb.3:
	v_bcnt_u32_b32 v1, v1, 0
	v_bcnt_u32_b32 v1, v2, v1
	s_waitcnt lgkmcnt(0)
	v_add_u32_e32 v1, v15, v1
	ds_write_b32 v4, v1 offset:8
.LBB54_4:
	s_or_b64 exec, exec, s[0:1]
	v_lshlrev_b32_sdwa v1, s9, v17 dst_sel:DWORD dst_unused:UNUSED_PAD src0_sel:DWORD src1_sel:WORD_0
	v_lshrrev_b32_e32 v1, s8, v1
	v_xor_b32_sdwa v1, v1, v18 dst_sel:DWORD dst_unused:UNUSED_PAD src0_sel:WORD_0 src1_sel:DWORD
	v_cndmask_b32_e64 v18, v1, 7, s[4:5]
	v_and_b32_e32 v2, 1, v18
	v_add_co_u32_e32 v20, vcc, -1, v2
	v_addc_co_u32_e64 v21, s[0:1], 0, -1, vcc
	v_cmp_ne_u32_e32 vcc, 0, v2
	v_mad_u32_u24 v1, v18, 12, v16
	v_xor_b32_e32 v2, vcc_hi, v21
	; wave barrier
	ds_read_b32 v17, v1 offset:8
	v_mov_b32_e32 v1, 0
	v_and_b32_e32 v21, exec_hi, v2
	v_lshlrev_b32_e32 v2, 30, v18
	v_xor_b32_e32 v20, vcc_lo, v20
	v_cmp_gt_i64_e32 vcc, 0, v[1:2]
	v_not_b32_e32 v2, v2
	v_ashrrev_i32_e32 v2, 31, v2
	v_and_b32_e32 v20, exec_lo, v20
	v_xor_b32_e32 v22, vcc_hi, v2
	v_xor_b32_e32 v2, vcc_lo, v2
	v_and_b32_e32 v20, v20, v2
	v_lshlrev_b32_e32 v2, 29, v18
	v_cmp_gt_i64_e32 vcc, 0, v[1:2]
	v_not_b32_e32 v1, v2
	v_ashrrev_i32_e32 v1, 31, v1
	v_xor_b32_e32 v2, vcc_hi, v1
	v_xor_b32_e32 v1, vcc_lo, v1
	v_and_b32_e32 v21, v21, v22
	v_and_b32_e32 v1, v20, v1
	v_mul_u32_u24_e32 v19, 12, v18
	v_and_b32_e32 v2, v21, v2
	v_mbcnt_lo_u32_b32 v18, v1, 0
	v_mbcnt_hi_u32_b32 v18, v2, v18
	v_cmp_ne_u64_e32 vcc, 0, v[1:2]
	v_cmp_eq_u32_e64 s[0:1], 0, v18
	s_and_b64 s[4:5], vcc, s[0:1]
	v_add_u32_e32 v16, v16, v19
	; wave barrier
	s_and_saveexec_b64 s[0:1], s[4:5]
	s_cbranch_execz .LBB54_6
; %bb.5:
	v_bcnt_u32_b32 v1, v1, 0
	v_bcnt_u32_b32 v1, v2, v1
	s_waitcnt lgkmcnt(0)
	v_add_u32_e32 v1, v17, v1
	ds_write_b32 v16, v1 offset:8
.LBB54_6:
	s_or_b64 exec, exec, s[0:1]
	; wave barrier
	s_waitcnt lgkmcnt(0)
	s_barrier
	ds_read_b32 v1, v11 offset:8
	v_and_b32_e32 v2, 15, v6
	v_cmp_ne_u32_e32 vcc, 0, v2
	s_waitcnt lgkmcnt(0)
	v_mov_b32_dpp v19, v1 row_shr:1 row_mask:0xf bank_mask:0xf
	v_cndmask_b32_e32 v19, 0, v19, vcc
	v_add_u32_e32 v1, v19, v1
	v_cmp_lt_u32_e32 vcc, 1, v2
	s_nop 0
	v_mov_b32_dpp v19, v1 row_shr:2 row_mask:0xf bank_mask:0xf
	v_cndmask_b32_e32 v19, 0, v19, vcc
	v_add_u32_e32 v1, v1, v19
	v_cmp_lt_u32_e32 vcc, 3, v2
	s_nop 0
	;; [unrolled: 5-line block ×3, first 2 shown]
	v_mov_b32_dpp v19, v1 row_shr:8 row_mask:0xf bank_mask:0xf
	v_cndmask_b32_e32 v2, 0, v19, vcc
	v_add_u32_e32 v1, v1, v2
	v_bfe_i32 v19, v6, 4, 1
	v_cmp_lt_u32_e32 vcc, 31, v6
	v_mov_b32_dpp v2, v1 row_bcast:15 row_mask:0xf bank_mask:0xf
	v_and_b32_e32 v2, v19, v2
	v_add_u32_e32 v1, v1, v2
	s_nop 1
	v_mov_b32_dpp v2, v1 row_bcast:31 row_mask:0xf bank_mask:0xf
	v_cndmask_b32_e32 v2, 0, v2, vcc
	v_add_u32_e32 v1, v1, v2
	v_min_u32_e32 v2, 38, v12
	v_add_u32_e32 v2, 63, v2
	v_cmp_eq_u32_e32 vcc, v0, v2
	s_and_saveexec_b64 s[0:1], vcc
; %bb.7:
	v_lshlrev_b32_e32 v2, 2, v9
	ds_write_b32 v2, v1
; %bb.8:
	s_or_b64 exec, exec, s[0:1]
	v_cmp_gt_u32_e32 vcc, 2, v0
	s_waitcnt lgkmcnt(0)
	s_barrier
	s_and_saveexec_b64 s[0:1], vcc
	s_cbranch_execz .LBB54_10
; %bb.9:
	ds_read_b32 v2, v11
	v_bfe_i32 v12, v6, 0, 1
	s_waitcnt lgkmcnt(0)
	v_mov_b32_dpp v19, v2 row_shr:1 row_mask:0xf bank_mask:0xf
	v_and_b32_e32 v12, v12, v19
	v_add_u32_e32 v2, v12, v2
	ds_write_b32 v11, v2
.LBB54_10:
	s_or_b64 exec, exec, s[0:1]
	v_cmp_lt_u32_e32 vcc, 63, v0
	v_mov_b32_e32 v0, 0
	s_waitcnt lgkmcnt(0)
	s_barrier
	s_and_saveexec_b64 s[0:1], vcc
; %bb.11:
	v_lshl_add_u32 v0, v9, 2, -4
	ds_read_b32 v0, v0
; %bb.12:
	s_or_b64 exec, exec, s[0:1]
	v_subrev_co_u32_e32 v2, vcc, 1, v6
	v_and_b32_e32 v9, 64, v6
	v_cmp_lt_i32_e64 s[0:1], v2, v9
	v_cndmask_b32_e64 v2, v2, v6, s[0:1]
	s_waitcnt lgkmcnt(0)
	v_add_u32_e32 v1, v0, v1
	v_lshlrev_b32_e32 v2, 2, v2
	ds_bpermute_b32 v1, v2, v1
	s_lshl_b64 s[0:1], s[6:7], 2
	s_add_u32 s0, s2, s0
	s_addc_u32 s1, s3, s1
	s_waitcnt lgkmcnt(0)
	v_cndmask_b32_e32 v0, v1, v0, vcc
	ds_write_b32 v11, v0 offset:8
	s_waitcnt lgkmcnt(0)
	s_barrier
	ds_read_b32 v0, v14 offset:8
	ds_read_b32 v1, v4 offset:8
	;; [unrolled: 1-line block ×3, first 2 shown]
	s_waitcnt lgkmcnt(0)
	s_barrier
	v_add_u32_e32 v0, v0, v13
	v_add3_u32 v1, v3, v15, v1
	v_lshlrev_b32_e32 v3, 2, v10
	ds_write_b32 v3, v0
	v_lshlrev_b32_e32 v0, 2, v8
	v_add_u32_e32 v3, v3, v0
	v_add3_u32 v2, v18, v17, v2
	v_add_u32_e32 v0, v3, v0
	ds_write_b32 v0, v2
	v_lshlrev_b32_e32 v2, 2, v7
	ds_write_b32 v3, v1
	; wave barrier
	ds_read2_b32 v[0:1], v2 offset1:1
	ds_read_b32 v2, v2 offset:8
	v_lshlrev_b32_e32 v3, 2, v5
	s_waitcnt lgkmcnt(0)
	global_store_dwordx3 v3, v[0:2], s[0:1]
	s_endpgm
	.section	.rodata,"a",@progbits
	.p2align	6, 0x0
	.amdhsa_kernel _Z11rank_kernelILj102ELj3ELj3ELb1EL18RadixRankAlgorithm2EtEvPKT4_Pijj
		.amdhsa_group_segment_fixed_size 1232
		.amdhsa_private_segment_fixed_size 0
		.amdhsa_kernarg_size 280
		.amdhsa_user_sgpr_count 6
		.amdhsa_user_sgpr_private_segment_buffer 1
		.amdhsa_user_sgpr_dispatch_ptr 0
		.amdhsa_user_sgpr_queue_ptr 0
		.amdhsa_user_sgpr_kernarg_segment_ptr 1
		.amdhsa_user_sgpr_dispatch_id 0
		.amdhsa_user_sgpr_flat_scratch_init 0
		.amdhsa_user_sgpr_private_segment_size 0
		.amdhsa_uses_dynamic_stack 0
		.amdhsa_system_sgpr_private_segment_wavefront_offset 0
		.amdhsa_system_sgpr_workgroup_id_x 1
		.amdhsa_system_sgpr_workgroup_id_y 0
		.amdhsa_system_sgpr_workgroup_id_z 0
		.amdhsa_system_sgpr_workgroup_info 0
		.amdhsa_system_vgpr_workitem_id 2
		.amdhsa_next_free_vgpr 23
		.amdhsa_next_free_sgpr 12
		.amdhsa_reserve_vcc 1
		.amdhsa_reserve_flat_scratch 0
		.amdhsa_float_round_mode_32 0
		.amdhsa_float_round_mode_16_64 0
		.amdhsa_float_denorm_mode_32 3
		.amdhsa_float_denorm_mode_16_64 3
		.amdhsa_dx10_clamp 1
		.amdhsa_ieee_mode 1
		.amdhsa_fp16_overflow 0
		.amdhsa_exception_fp_ieee_invalid_op 0
		.amdhsa_exception_fp_denorm_src 0
		.amdhsa_exception_fp_ieee_div_zero 0
		.amdhsa_exception_fp_ieee_overflow 0
		.amdhsa_exception_fp_ieee_underflow 0
		.amdhsa_exception_fp_ieee_inexact 0
		.amdhsa_exception_int_div_zero 0
	.end_amdhsa_kernel
	.section	.text._Z11rank_kernelILj102ELj3ELj3ELb1EL18RadixRankAlgorithm2EtEvPKT4_Pijj,"axG",@progbits,_Z11rank_kernelILj102ELj3ELj3ELb1EL18RadixRankAlgorithm2EtEvPKT4_Pijj,comdat
.Lfunc_end54:
	.size	_Z11rank_kernelILj102ELj3ELj3ELb1EL18RadixRankAlgorithm2EtEvPKT4_Pijj, .Lfunc_end54-_Z11rank_kernelILj102ELj3ELj3ELb1EL18RadixRankAlgorithm2EtEvPKT4_Pijj
                                        ; -- End function
	.set _Z11rank_kernelILj102ELj3ELj3ELb1EL18RadixRankAlgorithm2EtEvPKT4_Pijj.num_vgpr, 23
	.set _Z11rank_kernelILj102ELj3ELj3ELb1EL18RadixRankAlgorithm2EtEvPKT4_Pijj.num_agpr, 0
	.set _Z11rank_kernelILj102ELj3ELj3ELb1EL18RadixRankAlgorithm2EtEvPKT4_Pijj.numbered_sgpr, 12
	.set _Z11rank_kernelILj102ELj3ELj3ELb1EL18RadixRankAlgorithm2EtEvPKT4_Pijj.num_named_barrier, 0
	.set _Z11rank_kernelILj102ELj3ELj3ELb1EL18RadixRankAlgorithm2EtEvPKT4_Pijj.private_seg_size, 0
	.set _Z11rank_kernelILj102ELj3ELj3ELb1EL18RadixRankAlgorithm2EtEvPKT4_Pijj.uses_vcc, 1
	.set _Z11rank_kernelILj102ELj3ELj3ELb1EL18RadixRankAlgorithm2EtEvPKT4_Pijj.uses_flat_scratch, 0
	.set _Z11rank_kernelILj102ELj3ELj3ELb1EL18RadixRankAlgorithm2EtEvPKT4_Pijj.has_dyn_sized_stack, 0
	.set _Z11rank_kernelILj102ELj3ELj3ELb1EL18RadixRankAlgorithm2EtEvPKT4_Pijj.has_recursion, 0
	.set _Z11rank_kernelILj102ELj3ELj3ELb1EL18RadixRankAlgorithm2EtEvPKT4_Pijj.has_indirect_call, 0
	.section	.AMDGPU.csdata,"",@progbits
; Kernel info:
; codeLenInByte = 1488
; TotalNumSgprs: 16
; NumVgprs: 23
; ScratchSize: 0
; MemoryBound: 0
; FloatMode: 240
; IeeeMode: 1
; LDSByteSize: 1232 bytes/workgroup (compile time only)
; SGPRBlocks: 1
; VGPRBlocks: 5
; NumSGPRsForWavesPerEU: 16
; NumVGPRsForWavesPerEU: 23
; Occupancy: 10
; WaveLimiterHint : 0
; COMPUTE_PGM_RSRC2:SCRATCH_EN: 0
; COMPUTE_PGM_RSRC2:USER_SGPR: 6
; COMPUTE_PGM_RSRC2:TRAP_HANDLER: 0
; COMPUTE_PGM_RSRC2:TGID_X_EN: 1
; COMPUTE_PGM_RSRC2:TGID_Y_EN: 0
; COMPUTE_PGM_RSRC2:TGID_Z_EN: 0
; COMPUTE_PGM_RSRC2:TIDIG_COMP_CNT: 2
	.section	.text._Z11rank_kernelILj64ELj1ELj5ELb0EL18RadixRankAlgorithm2EyEvPKT4_Pijj,"axG",@progbits,_Z11rank_kernelILj64ELj1ELj5ELb0EL18RadixRankAlgorithm2EyEvPKT4_Pijj,comdat
	.protected	_Z11rank_kernelILj64ELj1ELj5ELb0EL18RadixRankAlgorithm2EyEvPKT4_Pijj ; -- Begin function _Z11rank_kernelILj64ELj1ELj5ELb0EL18RadixRankAlgorithm2EyEvPKT4_Pijj
	.globl	_Z11rank_kernelILj64ELj1ELj5ELb0EL18RadixRankAlgorithm2EyEvPKT4_Pijj
	.p2align	8
	.type	_Z11rank_kernelILj64ELj1ELj5ELb0EL18RadixRankAlgorithm2EyEvPKT4_Pijj,@function
_Z11rank_kernelILj64ELj1ELj5ELb0EL18RadixRankAlgorithm2EyEvPKT4_Pijj: ; @_Z11rank_kernelILj64ELj1ELj5ELb0EL18RadixRankAlgorithm2EyEvPKT4_Pijj
; %bb.0:
	s_load_dwordx4 s[0:3], s[4:5], 0x0
	s_load_dwordx2 s[8:9], s[4:5], 0x10
	s_lshl_b32 s6, s6, 6
	s_mov_b32 s7, 0
	s_lshl_b64 s[10:11], s[6:7], 3
	s_waitcnt lgkmcnt(0)
	s_add_u32 s0, s0, s10
	s_addc_u32 s1, s1, s11
	v_lshlrev_b32_e32 v3, 3, v0
	global_load_dwordx2 v[4:5], v3, s[0:1]
	s_load_dword s0, s[4:5], 0x24
	v_mbcnt_lo_u32_b32 v6, -1, 0
	v_mbcnt_hi_u32_b32 v7, -1, v6
	v_lshlrev_b32_e32 v9, 3, v7
	v_mov_b32_e32 v3, 0
	s_waitcnt lgkmcnt(0)
	s_lshr_b32 s1, s0, 16
	v_mul_u32_u24_e32 v2, s1, v2
	s_and_b32 s1, s9, 63
	v_lshlrev_b32_e32 v8, 2, v0
	s_cmp_eq_u32 s1, 0
	s_waitcnt vmcnt(0)
	ds_write_b64 v9, v[4:5]
	; wave barrier
	ds_read_b64 v[4:5], v9
	s_waitcnt lgkmcnt(0)
	; wave barrier
	ds_write_b32 v8, v3 offset:4
	s_waitcnt lgkmcnt(0)
	; wave barrier
	s_cbranch_scc1 .LBB55_2
; %bb.1:
	s_and_b32 s4, s8, 63
	s_add_i32 s4, s4, s1
	s_sub_i32 s4, 64, s4
	v_lshlrev_b64 v[4:5], s4, v[4:5]
	s_sub_i32 s1, 64, s1
	v_lshrrev_b64 v[5:6], s1, v[4:5]
	s_branch .LBB55_3
.LBB55_2:
	v_mov_b32_e32 v5, 0
.LBB55_3:
	s_and_b32 s0, s0, 0xffff
	v_add_u32_e32 v1, v2, v1
	v_mad_u32_u24 v1, v1, s0, v0
	v_lshrrev_b32_e32 v1, 4, v1
	v_and_b32_e32 v1, 0xffffffc, v1
	v_lshl_add_u32 v6, v5, 2, v1
	v_and_b32_e32 v1, 1, v5
	v_add_co_u32_e32 v2, vcc, -1, v1
	v_addc_co_u32_e64 v4, s[0:1], 0, -1, vcc
	v_cmp_ne_u32_e32 vcc, 0, v1
	v_xor_b32_e32 v1, vcc_hi, v4
	v_lshlrev_b32_e32 v4, 30, v5
	v_xor_b32_e32 v2, vcc_lo, v2
	v_cmp_gt_i64_e32 vcc, 0, v[3:4]
	v_not_b32_e32 v4, v4
	v_ashrrev_i32_e32 v4, 31, v4
	v_and_b32_e32 v2, exec_lo, v2
	v_xor_b32_e32 v10, vcc_hi, v4
	v_xor_b32_e32 v4, vcc_lo, v4
	v_and_b32_e32 v2, v2, v4
	v_lshlrev_b32_e32 v4, 29, v5
	v_cmp_gt_i64_e32 vcc, 0, v[3:4]
	v_not_b32_e32 v4, v4
	v_and_b32_e32 v1, exec_hi, v1
	v_ashrrev_i32_e32 v4, 31, v4
	v_and_b32_e32 v1, v1, v10
	v_xor_b32_e32 v10, vcc_hi, v4
	v_xor_b32_e32 v4, vcc_lo, v4
	v_and_b32_e32 v2, v2, v4
	v_lshlrev_b32_e32 v4, 28, v5
	v_cmp_gt_i64_e32 vcc, 0, v[3:4]
	v_not_b32_e32 v4, v4
	v_ashrrev_i32_e32 v4, 31, v4
	v_and_b32_e32 v1, v1, v10
	v_xor_b32_e32 v10, vcc_hi, v4
	v_xor_b32_e32 v4, vcc_lo, v4
	v_and_b32_e32 v1, v1, v10
	v_and_b32_e32 v10, v2, v4
	v_lshlrev_b32_e32 v4, 27, v5
	v_cmp_gt_i64_e32 vcc, 0, v[3:4]
	v_not_b32_e32 v2, v4
	v_ashrrev_i32_e32 v2, 31, v2
	v_xor_b32_e32 v3, vcc_hi, v2
	v_xor_b32_e32 v4, vcc_lo, v2
	v_and_b32_e32 v2, v1, v3
	v_and_b32_e32 v1, v10, v4
	v_mbcnt_lo_u32_b32 v3, v1, 0
	v_mbcnt_hi_u32_b32 v3, v2, v3
	v_cmp_ne_u64_e32 vcc, 0, v[1:2]
	v_cmp_eq_u32_e64 s[0:1], 0, v3
	s_and_b64 s[4:5], vcc, s[0:1]
	; wave barrier
	s_and_saveexec_b64 s[0:1], s[4:5]
; %bb.4:
	v_bcnt_u32_b32 v1, v1, 0
	v_bcnt_u32_b32 v1, v2, v1
	ds_write_b32 v6, v1 offset:4
; %bb.5:
	s_or_b64 exec, exec, s[0:1]
	; wave barrier
	s_waitcnt lgkmcnt(0)
	; wave barrier
	ds_read_b32 v1, v8 offset:4
	v_and_b32_e32 v2, 15, v7
	v_cmp_ne_u32_e32 vcc, 0, v2
	s_waitcnt lgkmcnt(0)
	v_mov_b32_dpp v4, v1 row_shr:1 row_mask:0xf bank_mask:0xf
	v_cndmask_b32_e32 v4, 0, v4, vcc
	v_add_u32_e32 v1, v4, v1
	v_cmp_lt_u32_e32 vcc, 1, v2
	s_nop 0
	v_mov_b32_dpp v4, v1 row_shr:2 row_mask:0xf bank_mask:0xf
	v_cndmask_b32_e32 v4, 0, v4, vcc
	v_add_u32_e32 v1, v1, v4
	v_cmp_lt_u32_e32 vcc, 3, v2
	s_nop 0
	;; [unrolled: 5-line block ×3, first 2 shown]
	v_mov_b32_dpp v4, v1 row_shr:8 row_mask:0xf bank_mask:0xf
	v_cndmask_b32_e32 v2, 0, v4, vcc
	v_add_u32_e32 v1, v1, v2
	v_bfe_i32 v4, v7, 4, 1
	v_cmp_lt_u32_e32 vcc, 31, v7
	v_mov_b32_dpp v2, v1 row_bcast:15 row_mask:0xf bank_mask:0xf
	v_and_b32_e32 v2, v4, v2
	v_add_u32_e32 v1, v1, v2
	s_nop 1
	v_mov_b32_dpp v2, v1 row_bcast:31 row_mask:0xf bank_mask:0xf
	v_cndmask_b32_e32 v2, 0, v2, vcc
	v_add_u32_e32 v1, v1, v2
	v_cmp_eq_u32_e32 vcc, 63, v0
	s_and_saveexec_b64 s[0:1], vcc
; %bb.6:
	v_mov_b32_e32 v0, 0
	ds_write_b32 v0, v1
; %bb.7:
	s_or_b64 exec, exec, s[0:1]
	v_subrev_co_u32_e32 v0, vcc, 1, v7
	v_and_b32_e32 v2, 64, v7
	v_cmp_lt_i32_e64 s[0:1], v0, v2
	v_cndmask_b32_e64 v0, v0, v7, s[0:1]
	v_lshlrev_b32_e32 v0, 2, v0
	ds_bpermute_b32 v0, v0, v1
	s_waitcnt lgkmcnt(0)
	; wave barrier
	v_lshlrev_b32_e32 v1, 2, v7
	v_sub_u32_e32 v1, v9, v1
	v_cndmask_b32_e64 v0, v0, 0, vcc
	ds_write_b32 v8, v0 offset:4
	s_waitcnt lgkmcnt(0)
	; wave barrier
	ds_read_b32 v0, v6 offset:4
	s_waitcnt lgkmcnt(0)
	; wave barrier
	s_lshl_b64 s[0:1], s[6:7], 2
	s_add_u32 s0, s2, s0
	v_add_u32_e32 v0, v0, v3
	ds_write_b32 v1, v0
	; wave barrier
	ds_read_b32 v0, v1
	s_addc_u32 s1, s3, s1
	s_waitcnt lgkmcnt(0)
	global_store_dword v8, v0, s[0:1]
	s_endpgm
	.section	.rodata,"a",@progbits
	.p2align	6, 0x0
	.amdhsa_kernel _Z11rank_kernelILj64ELj1ELj5ELb0EL18RadixRankAlgorithm2EyEvPKT4_Pijj
		.amdhsa_group_segment_fixed_size 512
		.amdhsa_private_segment_fixed_size 0
		.amdhsa_kernarg_size 280
		.amdhsa_user_sgpr_count 6
		.amdhsa_user_sgpr_private_segment_buffer 1
		.amdhsa_user_sgpr_dispatch_ptr 0
		.amdhsa_user_sgpr_queue_ptr 0
		.amdhsa_user_sgpr_kernarg_segment_ptr 1
		.amdhsa_user_sgpr_dispatch_id 0
		.amdhsa_user_sgpr_flat_scratch_init 0
		.amdhsa_user_sgpr_private_segment_size 0
		.amdhsa_uses_dynamic_stack 0
		.amdhsa_system_sgpr_private_segment_wavefront_offset 0
		.amdhsa_system_sgpr_workgroup_id_x 1
		.amdhsa_system_sgpr_workgroup_id_y 0
		.amdhsa_system_sgpr_workgroup_id_z 0
		.amdhsa_system_sgpr_workgroup_info 0
		.amdhsa_system_vgpr_workitem_id 2
		.amdhsa_next_free_vgpr 11
		.amdhsa_next_free_sgpr 12
		.amdhsa_reserve_vcc 1
		.amdhsa_reserve_flat_scratch 0
		.amdhsa_float_round_mode_32 0
		.amdhsa_float_round_mode_16_64 0
		.amdhsa_float_denorm_mode_32 3
		.amdhsa_float_denorm_mode_16_64 3
		.amdhsa_dx10_clamp 1
		.amdhsa_ieee_mode 1
		.amdhsa_fp16_overflow 0
		.amdhsa_exception_fp_ieee_invalid_op 0
		.amdhsa_exception_fp_denorm_src 0
		.amdhsa_exception_fp_ieee_div_zero 0
		.amdhsa_exception_fp_ieee_overflow 0
		.amdhsa_exception_fp_ieee_underflow 0
		.amdhsa_exception_fp_ieee_inexact 0
		.amdhsa_exception_int_div_zero 0
	.end_amdhsa_kernel
	.section	.text._Z11rank_kernelILj64ELj1ELj5ELb0EL18RadixRankAlgorithm2EyEvPKT4_Pijj,"axG",@progbits,_Z11rank_kernelILj64ELj1ELj5ELb0EL18RadixRankAlgorithm2EyEvPKT4_Pijj,comdat
.Lfunc_end55:
	.size	_Z11rank_kernelILj64ELj1ELj5ELb0EL18RadixRankAlgorithm2EyEvPKT4_Pijj, .Lfunc_end55-_Z11rank_kernelILj64ELj1ELj5ELb0EL18RadixRankAlgorithm2EyEvPKT4_Pijj
                                        ; -- End function
	.set _Z11rank_kernelILj64ELj1ELj5ELb0EL18RadixRankAlgorithm2EyEvPKT4_Pijj.num_vgpr, 11
	.set _Z11rank_kernelILj64ELj1ELj5ELb0EL18RadixRankAlgorithm2EyEvPKT4_Pijj.num_agpr, 0
	.set _Z11rank_kernelILj64ELj1ELj5ELb0EL18RadixRankAlgorithm2EyEvPKT4_Pijj.numbered_sgpr, 12
	.set _Z11rank_kernelILj64ELj1ELj5ELb0EL18RadixRankAlgorithm2EyEvPKT4_Pijj.num_named_barrier, 0
	.set _Z11rank_kernelILj64ELj1ELj5ELb0EL18RadixRankAlgorithm2EyEvPKT4_Pijj.private_seg_size, 0
	.set _Z11rank_kernelILj64ELj1ELj5ELb0EL18RadixRankAlgorithm2EyEvPKT4_Pijj.uses_vcc, 1
	.set _Z11rank_kernelILj64ELj1ELj5ELb0EL18RadixRankAlgorithm2EyEvPKT4_Pijj.uses_flat_scratch, 0
	.set _Z11rank_kernelILj64ELj1ELj5ELb0EL18RadixRankAlgorithm2EyEvPKT4_Pijj.has_dyn_sized_stack, 0
	.set _Z11rank_kernelILj64ELj1ELj5ELb0EL18RadixRankAlgorithm2EyEvPKT4_Pijj.has_recursion, 0
	.set _Z11rank_kernelILj64ELj1ELj5ELb0EL18RadixRankAlgorithm2EyEvPKT4_Pijj.has_indirect_call, 0
	.section	.AMDGPU.csdata,"",@progbits
; Kernel info:
; codeLenInByte = 768
; TotalNumSgprs: 16
; NumVgprs: 11
; ScratchSize: 0
; MemoryBound: 0
; FloatMode: 240
; IeeeMode: 1
; LDSByteSize: 512 bytes/workgroup (compile time only)
; SGPRBlocks: 1
; VGPRBlocks: 2
; NumSGPRsForWavesPerEU: 16
; NumVGPRsForWavesPerEU: 11
; Occupancy: 10
; WaveLimiterHint : 0
; COMPUTE_PGM_RSRC2:SCRATCH_EN: 0
; COMPUTE_PGM_RSRC2:USER_SGPR: 6
; COMPUTE_PGM_RSRC2:TRAP_HANDLER: 0
; COMPUTE_PGM_RSRC2:TGID_X_EN: 1
; COMPUTE_PGM_RSRC2:TGID_Y_EN: 0
; COMPUTE_PGM_RSRC2:TGID_Z_EN: 0
; COMPUTE_PGM_RSRC2:TIDIG_COMP_CNT: 2
	.section	.text._Z11rank_kernelILj234ELj9ELj4ELb0EL18RadixRankAlgorithm2E12hip_bfloat16EvPKT4_Pijj,"axG",@progbits,_Z11rank_kernelILj234ELj9ELj4ELb0EL18RadixRankAlgorithm2E12hip_bfloat16EvPKT4_Pijj,comdat
	.protected	_Z11rank_kernelILj234ELj9ELj4ELb0EL18RadixRankAlgorithm2E12hip_bfloat16EvPKT4_Pijj ; -- Begin function _Z11rank_kernelILj234ELj9ELj4ELb0EL18RadixRankAlgorithm2E12hip_bfloat16EvPKT4_Pijj
	.globl	_Z11rank_kernelILj234ELj9ELj4ELb0EL18RadixRankAlgorithm2E12hip_bfloat16EvPKT4_Pijj
	.p2align	8
	.type	_Z11rank_kernelILj234ELj9ELj4ELb0EL18RadixRankAlgorithm2E12hip_bfloat16EvPKT4_Pijj,@function
_Z11rank_kernelILj234ELj9ELj4ELb0EL18RadixRankAlgorithm2E12hip_bfloat16EvPKT4_Pijj: ; @_Z11rank_kernelILj234ELj9ELj4ELb0EL18RadixRankAlgorithm2E12hip_bfloat16EvPKT4_Pijj
; %bb.0:
	s_load_dwordx4 s[0:3], s[4:5], 0x0
	s_load_dwordx2 s[8:9], s[4:5], 0x10
	s_mulk_i32 s6, 0x83a
	s_mov_b32 s7, 0
	s_lshl_b64 s[10:11], s[6:7], 1
	s_waitcnt lgkmcnt(0)
	s_add_u32 s0, s0, s10
	v_mul_u32_u24_e32 v5, 9, v0
	s_addc_u32 s1, s1, s11
	v_lshlrev_b32_e32 v3, 1, v5
	global_load_dwordx4 v[18:21], v3, s[0:1]
	global_load_ushort v4, v3, s[0:1] offset:16
	s_load_dword s4, s[4:5], 0x24
	v_mbcnt_lo_u32_b32 v6, -1, 0
	s_movk_i32 s0, 0xc0
	v_and_b32_e32 v12, 0xc0, v0
	s_movk_i32 s1, 0x240
	v_mbcnt_hi_u32_b32 v10, -1, v6
	v_lshrrev_b32_e32 v11, 6, v0
	v_cmp_eq_u32_e32 vcc, s0, v12
	v_cndmask_b32_e64 v7, 64, 42, vcc
	v_mad_u32_u24 v8, v11, s1, v10
	v_lshlrev_b32_e32 v13, 1, v8
	v_lshlrev_b32_e32 v14, 1, v7
	v_add_u32_e32 v22, v13, v14
	s_waitcnt lgkmcnt(0)
	s_lshr_b32 s0, s4, 16
	v_add_u32_e32 v23, v22, v14
	s_and_b32 s1, s4, 0xffff
	v_mad_u32_u24 v1, v2, s0, v1
	v_add_u32_e32 v24, v23, v14
	v_mad_u64_u32 v[1:2], s[0:1], v1, s1, v[0:1]
	v_add_u32_e32 v25, v24, v14
	v_mul_u32_u24_e32 v6, 0x240, v11
	v_add_u32_e32 v27, v25, v14
	v_mad_u32_u24 v6, v10, 9, v6
	v_add_u32_e32 v28, v27, v14
	v_lshlrev_b32_e32 v16, 1, v6
	v_add_u32_e32 v2, v28, v14
	v_lshrrev_b32_e32 v1, 6, v1
	v_mov_b32_e32 v15, 0xffff8000
	s_and_b32 s9, s9, 31
	v_add_u32_e32 v14, v2, v14
	v_lshlrev_b32_e32 v17, 2, v1
	s_cmp_eq_u32 s9, 0
	s_movk_i32 s10, 0x7fff
	s_cselect_b64 s[4:5], -1, 0
	s_and_b32 s0, s8, 31
	s_add_i32 s0, s0, s9
	s_sub_i32 s8, 32, s9
	s_sub_i32 s9, 32, s0
	v_mov_b32_e32 v3, 0
	v_lshlrev_b32_e32 v9, 2, v0
	s_waitcnt vmcnt(1)
	ds_write_b128 v16, v[18:21]
	s_waitcnt vmcnt(0)
	ds_write_b16 v16, v4 offset:16
	; wave barrier
	ds_read_u16 v1, v13
	ds_read_u16 v16, v22
	;; [unrolled: 1-line block ×9, first 2 shown]
	s_waitcnt lgkmcnt(8)
	v_cmp_lt_i16_e32 vcc, -1, v1
	v_cndmask_b32_e32 v2, -1, v15, vcc
	v_xor_b32_e32 v1, v2, v1
	v_cmp_ne_u16_e32 vcc, s10, v1
	v_cndmask_b32_e32 v1, v15, v1, vcc
	v_lshlrev_b32_sdwa v1, s9, v1 dst_sel:DWORD dst_unused:UNUSED_PAD src0_sel:DWORD src1_sel:WORD_0
	v_bfe_u32 v1, v1, s8, 16
	v_cndmask_b32_e64 v1, v1, 0, s[4:5]
	v_and_b32_e32 v2, 1, v1
	v_add_co_u32_e32 v14, vcc, -1, v2
	v_lshlrev_b32_e32 v4, 30, v1
	v_addc_co_u32_e64 v19, s[0:1], 0, -1, vcc
	v_cmp_ne_u32_e32 vcc, 0, v2
	v_cmp_gt_i64_e64 s[0:1], 0, v[3:4]
	v_not_b32_e32 v2, v4
	v_xor_b32_e32 v4, vcc_hi, v19
	v_ashrrev_i32_e32 v2, 31, v2
	v_and_b32_e32 v4, exec_hi, v4
	v_xor_b32_e32 v19, s1, v2
	v_and_b32_e32 v19, v4, v19
	v_lshlrev_b32_e32 v4, 29, v1
	v_xor_b32_e32 v14, vcc_lo, v14
	v_cmp_gt_i64_e32 vcc, 0, v[3:4]
	v_not_b32_e32 v4, v4
	v_and_b32_e32 v14, exec_lo, v14
	v_xor_b32_e32 v2, s0, v2
	v_ashrrev_i32_e32 v4, 31, v4
	v_and_b32_e32 v2, v14, v2
	v_xor_b32_e32 v14, vcc_hi, v4
	v_xor_b32_e32 v4, vcc_lo, v4
	v_and_b32_e32 v14, v19, v14
	v_and_b32_e32 v19, v2, v4
	v_lshlrev_b32_e32 v4, 28, v1
	v_mad_u32_u24 v13, v1, 20, v17
	v_cmp_gt_i64_e32 vcc, 0, v[3:4]
	v_not_b32_e32 v1, v4
	v_ashrrev_i32_e32 v1, 31, v1
	v_xor_b32_e32 v2, vcc_hi, v1
	v_xor_b32_e32 v1, vcc_lo, v1
	v_and_b32_e32 v1, v19, v1
	v_and_b32_e32 v2, v14, v2
	v_mbcnt_lo_u32_b32 v4, v1, 0
	v_mbcnt_hi_u32_b32 v14, v2, v4
	v_cmp_ne_u64_e32 vcc, 0, v[1:2]
	v_cmp_eq_u32_e64 s[0:1], 0, v14
	s_and_b64 s[12:13], s[0:1], vcc
	s_waitcnt lgkmcnt(0)
	s_barrier
	ds_write_b32 v9, v3 offset:16
	s_waitcnt lgkmcnt(0)
	s_barrier
	; wave barrier
	s_and_saveexec_b64 s[0:1], s[12:13]
; %bb.1:
	v_bcnt_u32_b32 v1, v1, 0
	v_bcnt_u32_b32 v1, v2, v1
	ds_write_b32 v13, v1 offset:16
; %bb.2:
	s_or_b64 exec, exec, s[0:1]
	v_cmp_lt_i16_e32 vcc, -1, v16
	v_cndmask_b32_e32 v1, -1, v15, vcc
	v_xor_b32_e32 v1, v1, v16
	v_cmp_ne_u16_e32 vcc, s10, v1
	v_cndmask_b32_e32 v1, v15, v1, vcc
	v_lshlrev_b32_sdwa v1, s9, v1 dst_sel:DWORD dst_unused:UNUSED_PAD src0_sel:DWORD src1_sel:WORD_0
	v_lshrrev_b32_e32 v1, s8, v1
	v_and_b32_e32 v1, 0xffff, v1
	v_cndmask_b32_e64 v1, v1, 0, s[4:5]
	v_and_b32_e32 v2, 1, v1
	v_add_co_u32_e32 v4, vcc, -1, v2
	v_addc_co_u32_e64 v19, s[0:1], 0, -1, vcc
	v_cmp_ne_u32_e32 vcc, 0, v2
	v_xor_b32_e32 v4, vcc_lo, v4
	v_xor_b32_e32 v2, vcc_hi, v19
	v_and_b32_e32 v19, exec_lo, v4
	v_lshlrev_b32_e32 v4, 30, v1
	v_cmp_gt_i64_e32 vcc, 0, v[3:4]
	v_not_b32_e32 v4, v4
	v_ashrrev_i32_e32 v4, 31, v4
	v_xor_b32_e32 v21, vcc_hi, v4
	v_xor_b32_e32 v4, vcc_lo, v4
	v_and_b32_e32 v19, v19, v4
	v_lshlrev_b32_e32 v4, 29, v1
	v_cmp_gt_i64_e32 vcc, 0, v[3:4]
	v_not_b32_e32 v4, v4
	v_and_b32_e32 v2, exec_hi, v2
	v_ashrrev_i32_e32 v4, 31, v4
	v_and_b32_e32 v2, v2, v21
	v_xor_b32_e32 v21, vcc_hi, v4
	v_xor_b32_e32 v4, vcc_lo, v4
	v_and_b32_e32 v19, v19, v4
	v_lshlrev_b32_e32 v4, 28, v1
	v_mad_u32_u24 v16, v1, 20, v17
	v_cmp_gt_i64_e32 vcc, 0, v[3:4]
	v_not_b32_e32 v1, v4
	v_ashrrev_i32_e32 v1, 31, v1
	v_xor_b32_e32 v3, vcc_hi, v1
	v_xor_b32_e32 v1, vcc_lo, v1
	; wave barrier
	ds_read_b32 v15, v16 offset:16
	v_and_b32_e32 v2, v2, v21
	v_and_b32_e32 v1, v19, v1
	;; [unrolled: 1-line block ×3, first 2 shown]
	v_mbcnt_lo_u32_b32 v3, v1, 0
	v_mbcnt_hi_u32_b32 v4, v2, v3
	v_cmp_ne_u64_e32 vcc, 0, v[1:2]
	v_cmp_eq_u32_e64 s[0:1], 0, v4
	s_and_b64 s[10:11], s[0:1], vcc
	; wave barrier
	s_and_saveexec_b64 s[0:1], s[10:11]
	s_cbranch_execz .LBB56_4
; %bb.3:
	v_bcnt_u32_b32 v1, v1, 0
	v_bcnt_u32_b32 v1, v2, v1
	s_waitcnt lgkmcnt(0)
	v_add_u32_e32 v1, v15, v1
	ds_write_b32 v16, v1 offset:16
.LBB56_4:
	s_or_b64 exec, exec, s[0:1]
	v_mov_b32_e32 v23, 0xffff8000
	v_cmp_lt_i16_e32 vcc, -1, v18
	v_cndmask_b32_e32 v1, -1, v23, vcc
	v_xor_b32_e32 v1, v1, v18
	s_movk_i32 s10, 0x7fff
	v_cmp_ne_u16_e32 vcc, s10, v1
	v_cndmask_b32_e32 v1, v23, v1, vcc
	v_lshlrev_b32_sdwa v1, s9, v1 dst_sel:DWORD dst_unused:UNUSED_PAD src0_sel:DWORD src1_sel:WORD_0
	v_lshrrev_b32_e32 v1, s8, v1
	v_and_b32_e32 v1, 0xffff, v1
	v_cndmask_b32_e64 v3, v1, 0, s[4:5]
	v_and_b32_e32 v2, 1, v3
	v_add_co_u32_e32 v21, vcc, -1, v2
	v_addc_co_u32_e64 v25, s[0:1], 0, -1, vcc
	v_cmp_ne_u32_e32 vcc, 0, v2
	v_xor_b32_e32 v2, vcc_hi, v25
	v_mov_b32_e32 v1, 0
	v_and_b32_e32 v25, exec_hi, v2
	v_lshlrev_b32_e32 v2, 30, v3
	v_xor_b32_e32 v21, vcc_lo, v21
	v_cmp_gt_i64_e32 vcc, 0, v[1:2]
	v_not_b32_e32 v2, v2
	v_ashrrev_i32_e32 v2, 31, v2
	v_and_b32_e32 v21, exec_lo, v21
	v_xor_b32_e32 v27, vcc_hi, v2
	v_xor_b32_e32 v2, vcc_lo, v2
	v_and_b32_e32 v21, v21, v2
	v_lshlrev_b32_e32 v2, 29, v3
	v_cmp_gt_i64_e32 vcc, 0, v[1:2]
	v_not_b32_e32 v2, v2
	v_ashrrev_i32_e32 v2, 31, v2
	v_and_b32_e32 v25, v25, v27
	v_xor_b32_e32 v27, vcc_hi, v2
	v_xor_b32_e32 v2, vcc_lo, v2
	v_and_b32_e32 v21, v21, v2
	v_lshlrev_b32_e32 v2, 28, v3
	v_cmp_gt_i64_e32 vcc, 0, v[1:2]
	v_not_b32_e32 v2, v2
	v_ashrrev_i32_e32 v2, 31, v2
	v_mad_u32_u24 v19, v3, 20, v17
	v_xor_b32_e32 v3, vcc_hi, v2
	v_xor_b32_e32 v2, vcc_lo, v2
	; wave barrier
	ds_read_b32 v18, v19 offset:16
	v_and_b32_e32 v25, v25, v27
	v_and_b32_e32 v2, v21, v2
	;; [unrolled: 1-line block ×3, first 2 shown]
	v_mbcnt_lo_u32_b32 v21, v2, 0
	v_mbcnt_hi_u32_b32 v21, v3, v21
	v_cmp_ne_u64_e32 vcc, 0, v[2:3]
	v_cmp_eq_u32_e64 s[0:1], 0, v21
	s_and_b64 s[12:13], s[0:1], vcc
	; wave barrier
	s_and_saveexec_b64 s[0:1], s[12:13]
	s_cbranch_execz .LBB56_6
; %bb.5:
	v_bcnt_u32_b32 v2, v2, 0
	v_bcnt_u32_b32 v2, v3, v2
	s_waitcnt lgkmcnt(0)
	v_add_u32_e32 v2, v18, v2
	ds_write_b32 v19, v2 offset:16
.LBB56_6:
	s_or_b64 exec, exec, s[0:1]
	v_cmp_lt_i16_e32 vcc, -1, v22
	v_cndmask_b32_e32 v2, -1, v23, vcc
	v_xor_b32_e32 v2, v2, v22
	v_cmp_ne_u16_e32 vcc, s10, v2
	v_cndmask_b32_e32 v2, v23, v2, vcc
	v_lshlrev_b32_sdwa v2, s9, v2 dst_sel:DWORD dst_unused:UNUSED_PAD src0_sel:DWORD src1_sel:WORD_0
	v_lshrrev_b32_e32 v2, s8, v2
	v_and_b32_e32 v2, 0xffff, v2
	v_cndmask_b32_e64 v3, v2, 0, s[4:5]
	v_and_b32_e32 v2, 1, v3
	v_add_co_u32_e32 v25, vcc, -1, v2
	v_addc_co_u32_e64 v27, s[0:1], 0, -1, vcc
	v_cmp_ne_u32_e32 vcc, 0, v2
	v_xor_b32_e32 v2, vcc_hi, v27
	v_and_b32_e32 v27, exec_hi, v2
	v_lshlrev_b32_e32 v2, 30, v3
	v_xor_b32_e32 v25, vcc_lo, v25
	v_cmp_gt_i64_e32 vcc, 0, v[1:2]
	v_not_b32_e32 v2, v2
	v_ashrrev_i32_e32 v2, 31, v2
	v_and_b32_e32 v25, exec_lo, v25
	v_xor_b32_e32 v29, vcc_hi, v2
	v_xor_b32_e32 v2, vcc_lo, v2
	v_and_b32_e32 v25, v25, v2
	v_lshlrev_b32_e32 v2, 29, v3
	v_cmp_gt_i64_e32 vcc, 0, v[1:2]
	v_not_b32_e32 v2, v2
	v_ashrrev_i32_e32 v2, 31, v2
	v_and_b32_e32 v27, v27, v29
	v_xor_b32_e32 v29, vcc_hi, v2
	v_xor_b32_e32 v2, vcc_lo, v2
	v_and_b32_e32 v25, v25, v2
	v_lshlrev_b32_e32 v2, 28, v3
	v_cmp_gt_i64_e32 vcc, 0, v[1:2]
	v_not_b32_e32 v1, v2
	v_ashrrev_i32_e32 v1, 31, v1
	v_mad_u32_u24 v23, v3, 20, v17
	v_xor_b32_e32 v2, vcc_hi, v1
	v_xor_b32_e32 v1, vcc_lo, v1
	; wave barrier
	ds_read_b32 v22, v23 offset:16
	v_and_b32_e32 v27, v27, v29
	v_and_b32_e32 v1, v25, v1
	;; [unrolled: 1-line block ×3, first 2 shown]
	v_mbcnt_lo_u32_b32 v3, v1, 0
	v_mbcnt_hi_u32_b32 v25, v2, v3
	v_cmp_ne_u64_e32 vcc, 0, v[1:2]
	v_cmp_eq_u32_e64 s[0:1], 0, v25
	s_and_b64 s[10:11], s[0:1], vcc
	; wave barrier
	s_and_saveexec_b64 s[0:1], s[10:11]
	s_cbranch_execz .LBB56_8
; %bb.7:
	v_bcnt_u32_b32 v1, v1, 0
	v_bcnt_u32_b32 v1, v2, v1
	s_waitcnt lgkmcnt(0)
	v_add_u32_e32 v1, v22, v1
	ds_write_b32 v23, v1 offset:16
.LBB56_8:
	s_or_b64 exec, exec, s[0:1]
	v_mov_b32_e32 v31, 0xffff8000
	v_cmp_lt_i16_e32 vcc, -1, v26
	v_cndmask_b32_e32 v1, -1, v31, vcc
	v_xor_b32_e32 v1, v1, v26
	s_movk_i32 s10, 0x7fff
	v_cmp_ne_u16_e32 vcc, s10, v1
	v_cndmask_b32_e32 v1, v31, v1, vcc
	v_lshlrev_b32_sdwa v1, s9, v1 dst_sel:DWORD dst_unused:UNUSED_PAD src0_sel:DWORD src1_sel:WORD_0
	v_lshrrev_b32_e32 v1, s8, v1
	v_and_b32_e32 v1, 0xffff, v1
	v_cndmask_b32_e64 v3, v1, 0, s[4:5]
	v_and_b32_e32 v2, 1, v3
	v_add_co_u32_e32 v29, vcc, -1, v2
	v_addc_co_u32_e64 v32, s[0:1], 0, -1, vcc
	v_cmp_ne_u32_e32 vcc, 0, v2
	v_xor_b32_e32 v2, vcc_hi, v32
	v_mov_b32_e32 v1, 0
	v_and_b32_e32 v32, exec_hi, v2
	v_lshlrev_b32_e32 v2, 30, v3
	v_xor_b32_e32 v29, vcc_lo, v29
	v_cmp_gt_i64_e32 vcc, 0, v[1:2]
	v_not_b32_e32 v2, v2
	v_ashrrev_i32_e32 v2, 31, v2
	v_and_b32_e32 v29, exec_lo, v29
	v_xor_b32_e32 v33, vcc_hi, v2
	v_xor_b32_e32 v2, vcc_lo, v2
	v_and_b32_e32 v29, v29, v2
	v_lshlrev_b32_e32 v2, 29, v3
	v_cmp_gt_i64_e32 vcc, 0, v[1:2]
	v_not_b32_e32 v2, v2
	v_ashrrev_i32_e32 v2, 31, v2
	v_and_b32_e32 v32, v32, v33
	v_xor_b32_e32 v33, vcc_hi, v2
	v_xor_b32_e32 v2, vcc_lo, v2
	v_and_b32_e32 v29, v29, v2
	v_lshlrev_b32_e32 v2, 28, v3
	v_cmp_gt_i64_e32 vcc, 0, v[1:2]
	v_not_b32_e32 v2, v2
	v_ashrrev_i32_e32 v2, 31, v2
	v_mad_u32_u24 v27, v3, 20, v17
	v_xor_b32_e32 v3, vcc_hi, v2
	v_xor_b32_e32 v2, vcc_lo, v2
	; wave barrier
	ds_read_b32 v26, v27 offset:16
	v_and_b32_e32 v32, v32, v33
	v_and_b32_e32 v2, v29, v2
	;; [unrolled: 1-line block ×3, first 2 shown]
	v_mbcnt_lo_u32_b32 v29, v2, 0
	v_mbcnt_hi_u32_b32 v29, v3, v29
	v_cmp_ne_u64_e32 vcc, 0, v[2:3]
	v_cmp_eq_u32_e64 s[0:1], 0, v29
	s_and_b64 s[12:13], s[0:1], vcc
	; wave barrier
	s_and_saveexec_b64 s[0:1], s[12:13]
	s_cbranch_execz .LBB56_10
; %bb.9:
	v_bcnt_u32_b32 v2, v2, 0
	v_bcnt_u32_b32 v2, v3, v2
	s_waitcnt lgkmcnt(0)
	v_add_u32_e32 v2, v26, v2
	ds_write_b32 v27, v2 offset:16
.LBB56_10:
	s_or_b64 exec, exec, s[0:1]
	v_cmp_lt_i16_e32 vcc, -1, v30
	v_cndmask_b32_e32 v2, -1, v31, vcc
	v_xor_b32_e32 v2, v2, v30
	v_cmp_ne_u16_e32 vcc, s10, v2
	v_cndmask_b32_e32 v2, v31, v2, vcc
	v_lshlrev_b32_sdwa v2, s9, v2 dst_sel:DWORD dst_unused:UNUSED_PAD src0_sel:DWORD src1_sel:WORD_0
	v_lshrrev_b32_e32 v2, s8, v2
	v_and_b32_e32 v2, 0xffff, v2
	v_cndmask_b32_e64 v3, v2, 0, s[4:5]
	v_and_b32_e32 v2, 1, v3
	v_add_co_u32_e32 v32, vcc, -1, v2
	v_addc_co_u32_e64 v33, s[0:1], 0, -1, vcc
	v_cmp_ne_u32_e32 vcc, 0, v2
	v_xor_b32_e32 v2, vcc_hi, v33
	v_and_b32_e32 v33, exec_hi, v2
	v_lshlrev_b32_e32 v2, 30, v3
	v_xor_b32_e32 v32, vcc_lo, v32
	v_cmp_gt_i64_e32 vcc, 0, v[1:2]
	v_not_b32_e32 v2, v2
	v_ashrrev_i32_e32 v2, 31, v2
	v_and_b32_e32 v32, exec_lo, v32
	v_xor_b32_e32 v34, vcc_hi, v2
	v_xor_b32_e32 v2, vcc_lo, v2
	v_and_b32_e32 v32, v32, v2
	v_lshlrev_b32_e32 v2, 29, v3
	v_cmp_gt_i64_e32 vcc, 0, v[1:2]
	v_not_b32_e32 v2, v2
	v_ashrrev_i32_e32 v2, 31, v2
	v_and_b32_e32 v33, v33, v34
	v_xor_b32_e32 v34, vcc_hi, v2
	v_xor_b32_e32 v2, vcc_lo, v2
	v_and_b32_e32 v32, v32, v2
	v_lshlrev_b32_e32 v2, 28, v3
	v_cmp_gt_i64_e32 vcc, 0, v[1:2]
	v_not_b32_e32 v1, v2
	v_ashrrev_i32_e32 v1, 31, v1
	v_mad_u32_u24 v31, v3, 20, v17
	v_xor_b32_e32 v2, vcc_hi, v1
	v_xor_b32_e32 v1, vcc_lo, v1
	; wave barrier
	ds_read_b32 v30, v31 offset:16
	v_and_b32_e32 v33, v33, v34
	v_and_b32_e32 v1, v32, v1
	;; [unrolled: 1-line block ×3, first 2 shown]
	v_mbcnt_lo_u32_b32 v3, v1, 0
	v_mbcnt_hi_u32_b32 v32, v2, v3
	v_cmp_ne_u64_e32 vcc, 0, v[1:2]
	v_cmp_eq_u32_e64 s[0:1], 0, v32
	s_and_b64 s[10:11], s[0:1], vcc
	; wave barrier
	s_and_saveexec_b64 s[0:1], s[10:11]
	s_cbranch_execz .LBB56_12
; %bb.11:
	v_bcnt_u32_b32 v1, v1, 0
	v_bcnt_u32_b32 v1, v2, v1
	s_waitcnt lgkmcnt(0)
	v_add_u32_e32 v1, v30, v1
	ds_write_b32 v31, v1 offset:16
.LBB56_12:
	s_or_b64 exec, exec, s[0:1]
	v_mov_b32_e32 v35, 0xffff8000
	v_cmp_lt_i16_e32 vcc, -1, v28
	v_cndmask_b32_e32 v1, -1, v35, vcc
	v_xor_b32_e32 v1, v1, v28
	s_movk_i32 s10, 0x7fff
	v_cmp_ne_u16_e32 vcc, s10, v1
	v_cndmask_b32_e32 v1, v35, v1, vcc
	v_lshlrev_b32_sdwa v1, s9, v1 dst_sel:DWORD dst_unused:UNUSED_PAD src0_sel:DWORD src1_sel:WORD_0
	v_lshrrev_b32_e32 v1, s8, v1
	v_and_b32_e32 v1, 0xffff, v1
	v_cndmask_b32_e64 v3, v1, 0, s[4:5]
	v_and_b32_e32 v2, 1, v3
	v_add_co_u32_e32 v34, vcc, -1, v2
	v_addc_co_u32_e64 v36, s[0:1], 0, -1, vcc
	v_cmp_ne_u32_e32 vcc, 0, v2
	v_xor_b32_e32 v2, vcc_hi, v36
	v_mov_b32_e32 v1, 0
	v_and_b32_e32 v36, exec_hi, v2
	v_lshlrev_b32_e32 v2, 30, v3
	v_xor_b32_e32 v34, vcc_lo, v34
	v_cmp_gt_i64_e32 vcc, 0, v[1:2]
	v_not_b32_e32 v2, v2
	v_ashrrev_i32_e32 v2, 31, v2
	v_and_b32_e32 v34, exec_lo, v34
	v_xor_b32_e32 v37, vcc_hi, v2
	v_xor_b32_e32 v2, vcc_lo, v2
	v_and_b32_e32 v34, v34, v2
	v_lshlrev_b32_e32 v2, 29, v3
	v_cmp_gt_i64_e32 vcc, 0, v[1:2]
	v_not_b32_e32 v2, v2
	v_ashrrev_i32_e32 v2, 31, v2
	v_and_b32_e32 v36, v36, v37
	v_xor_b32_e32 v37, vcc_hi, v2
	v_xor_b32_e32 v2, vcc_lo, v2
	v_and_b32_e32 v34, v34, v2
	v_lshlrev_b32_e32 v2, 28, v3
	v_cmp_gt_i64_e32 vcc, 0, v[1:2]
	v_not_b32_e32 v2, v2
	v_ashrrev_i32_e32 v2, 31, v2
	v_mad_u32_u24 v33, v3, 20, v17
	v_xor_b32_e32 v3, vcc_hi, v2
	v_xor_b32_e32 v2, vcc_lo, v2
	; wave barrier
	ds_read_b32 v28, v33 offset:16
	v_and_b32_e32 v36, v36, v37
	v_and_b32_e32 v2, v34, v2
	;; [unrolled: 1-line block ×3, first 2 shown]
	v_mbcnt_lo_u32_b32 v34, v2, 0
	v_mbcnt_hi_u32_b32 v34, v3, v34
	v_cmp_ne_u64_e32 vcc, 0, v[2:3]
	v_cmp_eq_u32_e64 s[0:1], 0, v34
	s_and_b64 s[12:13], s[0:1], vcc
	; wave barrier
	s_and_saveexec_b64 s[0:1], s[12:13]
	s_cbranch_execz .LBB56_14
; %bb.13:
	v_bcnt_u32_b32 v2, v2, 0
	v_bcnt_u32_b32 v2, v3, v2
	s_waitcnt lgkmcnt(0)
	v_add_u32_e32 v2, v28, v2
	ds_write_b32 v33, v2 offset:16
.LBB56_14:
	s_or_b64 exec, exec, s[0:1]
	v_cmp_lt_i16_e32 vcc, -1, v24
	v_cndmask_b32_e32 v2, -1, v35, vcc
	v_xor_b32_e32 v2, v2, v24
	v_cmp_ne_u16_e32 vcc, s10, v2
	v_cndmask_b32_e32 v2, v35, v2, vcc
	v_lshlrev_b32_sdwa v2, s9, v2 dst_sel:DWORD dst_unused:UNUSED_PAD src0_sel:DWORD src1_sel:WORD_0
	v_lshrrev_b32_e32 v2, s8, v2
	v_and_b32_e32 v2, 0xffff, v2
	v_cndmask_b32_e64 v35, v2, 0, s[4:5]
	v_and_b32_e32 v2, 1, v35
	v_add_co_u32_e32 v36, vcc, -1, v2
	v_addc_co_u32_e64 v37, s[0:1], 0, -1, vcc
	v_cmp_ne_u32_e32 vcc, 0, v2
	v_xor_b32_e32 v2, vcc_hi, v37
	v_and_b32_e32 v37, exec_hi, v2
	v_lshlrev_b32_e32 v2, 30, v35
	v_xor_b32_e32 v36, vcc_lo, v36
	v_cmp_gt_i64_e32 vcc, 0, v[1:2]
	v_not_b32_e32 v2, v2
	v_ashrrev_i32_e32 v2, 31, v2
	v_and_b32_e32 v36, exec_lo, v36
	v_xor_b32_e32 v38, vcc_hi, v2
	v_xor_b32_e32 v2, vcc_lo, v2
	v_and_b32_e32 v36, v36, v2
	v_lshlrev_b32_e32 v2, 29, v35
	v_cmp_gt_i64_e32 vcc, 0, v[1:2]
	v_not_b32_e32 v2, v2
	v_ashrrev_i32_e32 v2, 31, v2
	v_and_b32_e32 v37, v37, v38
	v_xor_b32_e32 v38, vcc_hi, v2
	v_xor_b32_e32 v2, vcc_lo, v2
	v_and_b32_e32 v36, v36, v2
	v_lshlrev_b32_e32 v2, 28, v35
	v_cmp_gt_i64_e32 vcc, 0, v[1:2]
	v_not_b32_e32 v1, v2
	v_ashrrev_i32_e32 v1, 31, v1
	v_mad_u32_u24 v24, v35, 20, v17
	v_xor_b32_e32 v2, vcc_hi, v1
	v_xor_b32_e32 v1, vcc_lo, v1
	; wave barrier
	ds_read_b32 v3, v24 offset:16
	v_and_b32_e32 v37, v37, v38
	v_and_b32_e32 v1, v36, v1
	;; [unrolled: 1-line block ×3, first 2 shown]
	v_mbcnt_lo_u32_b32 v35, v1, 0
	v_mbcnt_hi_u32_b32 v35, v2, v35
	v_cmp_ne_u64_e32 vcc, 0, v[1:2]
	v_cmp_eq_u32_e64 s[0:1], 0, v35
	s_and_b64 s[10:11], s[0:1], vcc
	; wave barrier
	s_and_saveexec_b64 s[0:1], s[10:11]
	s_cbranch_execz .LBB56_16
; %bb.15:
	v_bcnt_u32_b32 v1, v1, 0
	v_bcnt_u32_b32 v1, v2, v1
	s_waitcnt lgkmcnt(0)
	v_add_u32_e32 v1, v3, v1
	ds_write_b32 v24, v1 offset:16
.LBB56_16:
	s_or_b64 exec, exec, s[0:1]
	v_mov_b32_e32 v1, 0xffff8000
	v_cmp_lt_i16_e32 vcc, -1, v20
	v_cndmask_b32_e32 v2, -1, v1, vcc
	v_xor_b32_e32 v2, v2, v20
	s_movk_i32 s0, 0x7fff
	v_cmp_ne_u16_e32 vcc, s0, v2
	v_cndmask_b32_e32 v1, v1, v2, vcc
	v_lshlrev_b32_sdwa v1, s9, v1 dst_sel:DWORD dst_unused:UNUSED_PAD src0_sel:DWORD src1_sel:WORD_0
	v_lshrrev_b32_e32 v1, s8, v1
	v_and_b32_e32 v1, 0xffff, v1
	v_cndmask_b32_e64 v36, v1, 0, s[4:5]
	v_and_b32_e32 v2, 1, v36
	v_add_co_u32_e32 v37, vcc, -1, v2
	v_addc_co_u32_e64 v38, s[0:1], 0, -1, vcc
	v_cmp_ne_u32_e32 vcc, 0, v2
	v_xor_b32_e32 v2, vcc_hi, v38
	v_mov_b32_e32 v1, 0
	v_and_b32_e32 v38, exec_hi, v2
	v_lshlrev_b32_e32 v2, 30, v36
	v_xor_b32_e32 v37, vcc_lo, v37
	v_cmp_gt_i64_e32 vcc, 0, v[1:2]
	v_not_b32_e32 v2, v2
	v_ashrrev_i32_e32 v2, 31, v2
	v_and_b32_e32 v37, exec_lo, v37
	v_xor_b32_e32 v39, vcc_hi, v2
	v_xor_b32_e32 v2, vcc_lo, v2
	v_and_b32_e32 v37, v37, v2
	v_lshlrev_b32_e32 v2, 29, v36
	v_cmp_gt_i64_e32 vcc, 0, v[1:2]
	v_not_b32_e32 v2, v2
	v_ashrrev_i32_e32 v2, 31, v2
	v_and_b32_e32 v38, v38, v39
	v_xor_b32_e32 v39, vcc_hi, v2
	v_xor_b32_e32 v2, vcc_lo, v2
	v_and_b32_e32 v37, v37, v2
	v_lshlrev_b32_e32 v2, 28, v36
	v_cmp_gt_i64_e32 vcc, 0, v[1:2]
	v_not_b32_e32 v1, v2
	v_ashrrev_i32_e32 v1, 31, v1
	v_mad_u32_u24 v20, v36, 20, v17
	v_xor_b32_e32 v2, vcc_hi, v1
	v_xor_b32_e32 v1, vcc_lo, v1
	; wave barrier
	ds_read_b32 v17, v20 offset:16
	v_and_b32_e32 v38, v38, v39
	v_and_b32_e32 v1, v37, v1
	;; [unrolled: 1-line block ×3, first 2 shown]
	v_mbcnt_lo_u32_b32 v36, v1, 0
	v_mbcnt_hi_u32_b32 v36, v2, v36
	v_cmp_ne_u64_e32 vcc, 0, v[1:2]
	v_cmp_eq_u32_e64 s[0:1], 0, v36
	s_and_b64 s[4:5], s[0:1], vcc
	; wave barrier
	s_and_saveexec_b64 s[0:1], s[4:5]
	s_cbranch_execz .LBB56_18
; %bb.17:
	v_bcnt_u32_b32 v1, v1, 0
	v_bcnt_u32_b32 v1, v2, v1
	s_waitcnt lgkmcnt(0)
	v_add_u32_e32 v1, v17, v1
	ds_write_b32 v20, v1 offset:16
.LBB56_18:
	s_or_b64 exec, exec, s[0:1]
	; wave barrier
	s_waitcnt lgkmcnt(0)
	s_barrier
	ds_read_b32 v1, v9 offset:16
	v_and_b32_e32 v2, 15, v10
	v_cmp_ne_u32_e32 vcc, 0, v2
	s_waitcnt lgkmcnt(0)
	v_mov_b32_dpp v37, v1 row_shr:1 row_mask:0xf bank_mask:0xf
	v_cndmask_b32_e32 v37, 0, v37, vcc
	v_add_u32_e32 v1, v37, v1
	v_cmp_lt_u32_e32 vcc, 1, v2
	s_nop 0
	v_mov_b32_dpp v37, v1 row_shr:2 row_mask:0xf bank_mask:0xf
	v_cndmask_b32_e32 v37, 0, v37, vcc
	v_add_u32_e32 v1, v1, v37
	v_cmp_lt_u32_e32 vcc, 3, v2
	s_nop 0
	;; [unrolled: 5-line block ×3, first 2 shown]
	v_mov_b32_dpp v37, v1 row_shr:8 row_mask:0xf bank_mask:0xf
	v_cndmask_b32_e32 v2, 0, v37, vcc
	v_add_u32_e32 v1, v1, v2
	v_bfe_i32 v37, v10, 4, 1
	v_cmp_lt_u32_e32 vcc, 31, v10
	v_mov_b32_dpp v2, v1 row_bcast:15 row_mask:0xf bank_mask:0xf
	v_and_b32_e32 v2, v37, v2
	v_add_u32_e32 v1, v1, v2
	s_nop 1
	v_mov_b32_dpp v2, v1 row_bcast:31 row_mask:0xf bank_mask:0xf
	v_cndmask_b32_e32 v2, 0, v2, vcc
	v_add_u32_e32 v1, v1, v2
	v_min_u32_e32 v2, 0xaa, v12
	v_add_u32_e32 v2, 63, v2
	v_cmp_eq_u32_e32 vcc, v0, v2
	s_and_saveexec_b64 s[0:1], vcc
; %bb.19:
	v_lshlrev_b32_e32 v2, 2, v11
	ds_write_b32 v2, v1
; %bb.20:
	s_or_b64 exec, exec, s[0:1]
	v_cmp_gt_u32_e32 vcc, 4, v0
	s_waitcnt lgkmcnt(0)
	s_barrier
	s_and_saveexec_b64 s[0:1], vcc
	s_cbranch_execz .LBB56_22
; %bb.21:
	ds_read_b32 v2, v9
	v_and_b32_e32 v12, 3, v10
	v_cmp_ne_u32_e32 vcc, 0, v12
	s_waitcnt lgkmcnt(0)
	v_mov_b32_dpp v37, v2 row_shr:1 row_mask:0xf bank_mask:0xf
	v_cndmask_b32_e32 v37, 0, v37, vcc
	v_add_u32_e32 v2, v37, v2
	v_cmp_lt_u32_e32 vcc, 1, v12
	s_nop 0
	v_mov_b32_dpp v37, v2 row_shr:2 row_mask:0xf bank_mask:0xf
	v_cndmask_b32_e32 v12, 0, v37, vcc
	v_add_u32_e32 v2, v2, v12
	ds_write_b32 v9, v2
.LBB56_22:
	s_or_b64 exec, exec, s[0:1]
	v_cmp_lt_u32_e32 vcc, 63, v0
	v_mov_b32_e32 v0, 0
	s_waitcnt lgkmcnt(0)
	s_barrier
	s_and_saveexec_b64 s[0:1], vcc
; %bb.23:
	v_lshl_add_u32 v0, v11, 2, -4
	ds_read_b32 v0, v0
; %bb.24:
	s_or_b64 exec, exec, s[0:1]
	v_subrev_co_u32_e32 v2, vcc, 1, v10
	v_and_b32_e32 v11, 64, v10
	v_cmp_lt_i32_e64 s[0:1], v2, v11
	v_cndmask_b32_e64 v2, v2, v10, s[0:1]
	s_waitcnt lgkmcnt(0)
	v_add_u32_e32 v1, v0, v1
	v_lshlrev_b32_e32 v2, 2, v2
	ds_bpermute_b32 v1, v2, v1
	v_lshlrev_b32_e32 v8, 2, v8
	s_lshl_b64 s[0:1], s[6:7], 2
	s_add_u32 s0, s2, s0
	s_addc_u32 s1, s3, s1
	s_waitcnt lgkmcnt(0)
	v_cndmask_b32_e32 v0, v1, v0, vcc
	ds_write_b32 v9, v0 offset:16
	s_waitcnt lgkmcnt(0)
	s_barrier
	ds_read_b32 v0, v13 offset:16
	ds_read_b32 v1, v16 offset:16
	;; [unrolled: 1-line block ×8, first 2 shown]
	s_waitcnt lgkmcnt(7)
	v_add_u32_e32 v0, v0, v14
	s_waitcnt lgkmcnt(6)
	v_add3_u32 v1, v4, v15, v1
	s_waitcnt lgkmcnt(4)
	v_add3_u32 v4, v25, v22, v9
	ds_read_b32 v9, v20 offset:16
	s_waitcnt lgkmcnt(0)
	s_barrier
	ds_write_b32 v8, v0
	v_lshlrev_b32_e32 v0, 2, v7
	v_add_u32_e32 v7, v8, v0
	v_add3_u32 v2, v21, v18, v2
	ds_write_b32 v7, v1
	v_add_u32_e32 v1, v7, v0
	ds_write_b32 v1, v2
	v_add_u32_e32 v1, v1, v0
	v_add3_u32 v10, v29, v26, v10
	ds_write_b32 v1, v4
	v_add_u32_e32 v1, v1, v0
	v_add3_u32 v11, v32, v30, v11
	;; [unrolled: 3-line block ×3, first 2 shown]
	ds_write_b32 v1, v11
	v_add_u32_e32 v1, v1, v0
	ds_write_b32 v1, v12
	v_add_u32_e32 v1, v1, v0
	v_add3_u32 v3, v35, v3, v13
	v_add3_u32 v9, v36, v17, v9
	v_add_u32_e32 v0, v1, v0
	v_lshlrev_b32_e32 v4, 2, v6
	ds_write_b32 v1, v3
	ds_write_b32 v0, v9
	; wave barrier
	ds_read2_b32 v[0:1], v4 offset1:1
	ds_read2_b32 v[2:3], v4 offset0:2 offset1:3
	ds_read2_b32 v[6:7], v4 offset0:4 offset1:5
	;; [unrolled: 1-line block ×3, first 2 shown]
	ds_read_b32 v4, v4 offset:32
	v_lshlrev_b32_e32 v5, 2, v5
	s_waitcnt lgkmcnt(3)
	global_store_dwordx4 v5, v[0:3], s[0:1]
	s_waitcnt lgkmcnt(1)
	global_store_dwordx4 v5, v[6:9], s[0:1] offset:16
	s_waitcnt lgkmcnt(0)
	global_store_dword v5, v4, s[0:1] offset:32
	s_endpgm
	.section	.rodata,"a",@progbits
	.p2align	6, 0x0
	.amdhsa_kernel _Z11rank_kernelILj234ELj9ELj4ELb0EL18RadixRankAlgorithm2E12hip_bfloat16EvPKT4_Pijj
		.amdhsa_group_segment_fixed_size 8432
		.amdhsa_private_segment_fixed_size 0
		.amdhsa_kernarg_size 280
		.amdhsa_user_sgpr_count 6
		.amdhsa_user_sgpr_private_segment_buffer 1
		.amdhsa_user_sgpr_dispatch_ptr 0
		.amdhsa_user_sgpr_queue_ptr 0
		.amdhsa_user_sgpr_kernarg_segment_ptr 1
		.amdhsa_user_sgpr_dispatch_id 0
		.amdhsa_user_sgpr_flat_scratch_init 0
		.amdhsa_user_sgpr_private_segment_size 0
		.amdhsa_uses_dynamic_stack 0
		.amdhsa_system_sgpr_private_segment_wavefront_offset 0
		.amdhsa_system_sgpr_workgroup_id_x 1
		.amdhsa_system_sgpr_workgroup_id_y 0
		.amdhsa_system_sgpr_workgroup_id_z 0
		.amdhsa_system_sgpr_workgroup_info 0
		.amdhsa_system_vgpr_workitem_id 2
		.amdhsa_next_free_vgpr 40
		.amdhsa_next_free_sgpr 77
		.amdhsa_reserve_vcc 1
		.amdhsa_reserve_flat_scratch 0
		.amdhsa_float_round_mode_32 0
		.amdhsa_float_round_mode_16_64 0
		.amdhsa_float_denorm_mode_32 3
		.amdhsa_float_denorm_mode_16_64 3
		.amdhsa_dx10_clamp 1
		.amdhsa_ieee_mode 1
		.amdhsa_fp16_overflow 0
		.amdhsa_exception_fp_ieee_invalid_op 0
		.amdhsa_exception_fp_denorm_src 0
		.amdhsa_exception_fp_ieee_div_zero 0
		.amdhsa_exception_fp_ieee_overflow 0
		.amdhsa_exception_fp_ieee_underflow 0
		.amdhsa_exception_fp_ieee_inexact 0
		.amdhsa_exception_int_div_zero 0
	.end_amdhsa_kernel
	.section	.text._Z11rank_kernelILj234ELj9ELj4ELb0EL18RadixRankAlgorithm2E12hip_bfloat16EvPKT4_Pijj,"axG",@progbits,_Z11rank_kernelILj234ELj9ELj4ELb0EL18RadixRankAlgorithm2E12hip_bfloat16EvPKT4_Pijj,comdat
.Lfunc_end56:
	.size	_Z11rank_kernelILj234ELj9ELj4ELb0EL18RadixRankAlgorithm2E12hip_bfloat16EvPKT4_Pijj, .Lfunc_end56-_Z11rank_kernelILj234ELj9ELj4ELb0EL18RadixRankAlgorithm2E12hip_bfloat16EvPKT4_Pijj
                                        ; -- End function
	.set _Z11rank_kernelILj234ELj9ELj4ELb0EL18RadixRankAlgorithm2E12hip_bfloat16EvPKT4_Pijj.num_vgpr, 40
	.set _Z11rank_kernelILj234ELj9ELj4ELb0EL18RadixRankAlgorithm2E12hip_bfloat16EvPKT4_Pijj.num_agpr, 0
	.set _Z11rank_kernelILj234ELj9ELj4ELb0EL18RadixRankAlgorithm2E12hip_bfloat16EvPKT4_Pijj.numbered_sgpr, 14
	.set _Z11rank_kernelILj234ELj9ELj4ELb0EL18RadixRankAlgorithm2E12hip_bfloat16EvPKT4_Pijj.num_named_barrier, 0
	.set _Z11rank_kernelILj234ELj9ELj4ELb0EL18RadixRankAlgorithm2E12hip_bfloat16EvPKT4_Pijj.private_seg_size, 0
	.set _Z11rank_kernelILj234ELj9ELj4ELb0EL18RadixRankAlgorithm2E12hip_bfloat16EvPKT4_Pijj.uses_vcc, 1
	.set _Z11rank_kernelILj234ELj9ELj4ELb0EL18RadixRankAlgorithm2E12hip_bfloat16EvPKT4_Pijj.uses_flat_scratch, 0
	.set _Z11rank_kernelILj234ELj9ELj4ELb0EL18RadixRankAlgorithm2E12hip_bfloat16EvPKT4_Pijj.has_dyn_sized_stack, 0
	.set _Z11rank_kernelILj234ELj9ELj4ELb0EL18RadixRankAlgorithm2E12hip_bfloat16EvPKT4_Pijj.has_recursion, 0
	.set _Z11rank_kernelILj234ELj9ELj4ELb0EL18RadixRankAlgorithm2E12hip_bfloat16EvPKT4_Pijj.has_indirect_call, 0
	.section	.AMDGPU.csdata,"",@progbits
; Kernel info:
; codeLenInByte = 3664
; TotalNumSgprs: 18
; NumVgprs: 40
; ScratchSize: 0
; MemoryBound: 0
; FloatMode: 240
; IeeeMode: 1
; LDSByteSize: 8432 bytes/workgroup (compile time only)
; SGPRBlocks: 10
; VGPRBlocks: 9
; NumSGPRsForWavesPerEU: 81
; NumVGPRsForWavesPerEU: 40
; Occupancy: 6
; WaveLimiterHint : 0
; COMPUTE_PGM_RSRC2:SCRATCH_EN: 0
; COMPUTE_PGM_RSRC2:USER_SGPR: 6
; COMPUTE_PGM_RSRC2:TRAP_HANDLER: 0
; COMPUTE_PGM_RSRC2:TGID_X_EN: 1
; COMPUTE_PGM_RSRC2:TGID_Y_EN: 0
; COMPUTE_PGM_RSRC2:TGID_Z_EN: 0
; COMPUTE_PGM_RSRC2:TIDIG_COMP_CNT: 2
	.section	.text._Z11rank_kernelILj234ELj9ELj4ELb0EL18RadixRankAlgorithm2E6__halfEvPKT4_Pijj,"axG",@progbits,_Z11rank_kernelILj234ELj9ELj4ELb0EL18RadixRankAlgorithm2E6__halfEvPKT4_Pijj,comdat
	.protected	_Z11rank_kernelILj234ELj9ELj4ELb0EL18RadixRankAlgorithm2E6__halfEvPKT4_Pijj ; -- Begin function _Z11rank_kernelILj234ELj9ELj4ELb0EL18RadixRankAlgorithm2E6__halfEvPKT4_Pijj
	.globl	_Z11rank_kernelILj234ELj9ELj4ELb0EL18RadixRankAlgorithm2E6__halfEvPKT4_Pijj
	.p2align	8
	.type	_Z11rank_kernelILj234ELj9ELj4ELb0EL18RadixRankAlgorithm2E6__halfEvPKT4_Pijj,@function
_Z11rank_kernelILj234ELj9ELj4ELb0EL18RadixRankAlgorithm2E6__halfEvPKT4_Pijj: ; @_Z11rank_kernelILj234ELj9ELj4ELb0EL18RadixRankAlgorithm2E6__halfEvPKT4_Pijj
; %bb.0:
	s_load_dwordx4 s[0:3], s[4:5], 0x0
	s_load_dwordx2 s[8:9], s[4:5], 0x10
	s_mulk_i32 s6, 0x83a
	s_mov_b32 s7, 0
	s_lshl_b64 s[10:11], s[6:7], 1
	s_waitcnt lgkmcnt(0)
	s_add_u32 s0, s0, s10
	v_mul_u32_u24_e32 v5, 9, v0
	s_addc_u32 s1, s1, s11
	v_lshlrev_b32_e32 v3, 1, v5
	global_load_dwordx4 v[18:21], v3, s[0:1]
	global_load_ushort v4, v3, s[0:1] offset:16
	s_load_dword s4, s[4:5], 0x24
	v_mbcnt_lo_u32_b32 v6, -1, 0
	s_movk_i32 s0, 0xc0
	v_and_b32_e32 v12, 0xc0, v0
	s_movk_i32 s1, 0x240
	v_mbcnt_hi_u32_b32 v10, -1, v6
	v_lshrrev_b32_e32 v11, 6, v0
	v_cmp_eq_u32_e32 vcc, s0, v12
	v_cndmask_b32_e64 v7, 64, 42, vcc
	v_mad_u32_u24 v8, v11, s1, v10
	v_lshlrev_b32_e32 v13, 1, v8
	v_lshlrev_b32_e32 v14, 1, v7
	v_add_u32_e32 v22, v13, v14
	s_waitcnt lgkmcnt(0)
	s_lshr_b32 s0, s4, 16
	v_add_u32_e32 v23, v22, v14
	s_and_b32 s1, s4, 0xffff
	v_mad_u32_u24 v1, v2, s0, v1
	v_add_u32_e32 v24, v23, v14
	v_mad_u64_u32 v[1:2], s[0:1], v1, s1, v[0:1]
	v_add_u32_e32 v25, v24, v14
	v_mul_u32_u24_e32 v6, 0x240, v11
	v_add_u32_e32 v27, v25, v14
	v_mad_u32_u24 v6, v10, 9, v6
	v_add_u32_e32 v28, v27, v14
	v_lshlrev_b32_e32 v16, 1, v6
	v_add_u32_e32 v2, v28, v14
	v_lshrrev_b32_e32 v1, 6, v1
	v_mov_b32_e32 v15, 0xffff8000
	s_and_b32 s9, s9, 31
	v_add_u32_e32 v14, v2, v14
	v_lshlrev_b32_e32 v17, 2, v1
	s_cmp_eq_u32 s9, 0
	s_movk_i32 s10, 0x7fff
	s_cselect_b64 s[4:5], -1, 0
	s_and_b32 s0, s8, 31
	s_add_i32 s0, s0, s9
	s_sub_i32 s8, 32, s9
	s_sub_i32 s9, 32, s0
	v_mov_b32_e32 v3, 0
	v_lshlrev_b32_e32 v9, 2, v0
	s_waitcnt vmcnt(1)
	ds_write_b128 v16, v[18:21]
	s_waitcnt vmcnt(0)
	ds_write_b16 v16, v4 offset:16
	; wave barrier
	ds_read_u16 v1, v13
	ds_read_u16 v16, v22
	;; [unrolled: 1-line block ×9, first 2 shown]
	s_waitcnt lgkmcnt(8)
	v_cmp_lt_i16_e32 vcc, -1, v1
	v_cndmask_b32_e32 v2, -1, v15, vcc
	v_xor_b32_e32 v1, v2, v1
	v_cmp_ne_u16_e32 vcc, s10, v1
	v_cndmask_b32_e32 v1, v15, v1, vcc
	v_lshlrev_b32_sdwa v1, s9, v1 dst_sel:DWORD dst_unused:UNUSED_PAD src0_sel:DWORD src1_sel:WORD_0
	v_bfe_u32 v1, v1, s8, 16
	v_cndmask_b32_e64 v1, v1, 0, s[4:5]
	v_and_b32_e32 v2, 1, v1
	v_add_co_u32_e32 v14, vcc, -1, v2
	v_lshlrev_b32_e32 v4, 30, v1
	v_addc_co_u32_e64 v19, s[0:1], 0, -1, vcc
	v_cmp_ne_u32_e32 vcc, 0, v2
	v_cmp_gt_i64_e64 s[0:1], 0, v[3:4]
	v_not_b32_e32 v2, v4
	v_xor_b32_e32 v4, vcc_hi, v19
	v_ashrrev_i32_e32 v2, 31, v2
	v_and_b32_e32 v4, exec_hi, v4
	v_xor_b32_e32 v19, s1, v2
	v_and_b32_e32 v19, v4, v19
	v_lshlrev_b32_e32 v4, 29, v1
	v_xor_b32_e32 v14, vcc_lo, v14
	v_cmp_gt_i64_e32 vcc, 0, v[3:4]
	v_not_b32_e32 v4, v4
	v_and_b32_e32 v14, exec_lo, v14
	v_xor_b32_e32 v2, s0, v2
	v_ashrrev_i32_e32 v4, 31, v4
	v_and_b32_e32 v2, v14, v2
	v_xor_b32_e32 v14, vcc_hi, v4
	v_xor_b32_e32 v4, vcc_lo, v4
	v_and_b32_e32 v14, v19, v14
	v_and_b32_e32 v19, v2, v4
	v_lshlrev_b32_e32 v4, 28, v1
	v_mad_u32_u24 v13, v1, 20, v17
	v_cmp_gt_i64_e32 vcc, 0, v[3:4]
	v_not_b32_e32 v1, v4
	v_ashrrev_i32_e32 v1, 31, v1
	v_xor_b32_e32 v2, vcc_hi, v1
	v_xor_b32_e32 v1, vcc_lo, v1
	v_and_b32_e32 v1, v19, v1
	v_and_b32_e32 v2, v14, v2
	v_mbcnt_lo_u32_b32 v4, v1, 0
	v_mbcnt_hi_u32_b32 v14, v2, v4
	v_cmp_ne_u64_e32 vcc, 0, v[1:2]
	v_cmp_eq_u32_e64 s[0:1], 0, v14
	s_and_b64 s[12:13], s[0:1], vcc
	s_waitcnt lgkmcnt(0)
	s_barrier
	ds_write_b32 v9, v3 offset:16
	s_waitcnt lgkmcnt(0)
	s_barrier
	; wave barrier
	s_and_saveexec_b64 s[0:1], s[12:13]
; %bb.1:
	v_bcnt_u32_b32 v1, v1, 0
	v_bcnt_u32_b32 v1, v2, v1
	ds_write_b32 v13, v1 offset:16
; %bb.2:
	s_or_b64 exec, exec, s[0:1]
	v_cmp_lt_i16_e32 vcc, -1, v16
	v_cndmask_b32_e32 v1, -1, v15, vcc
	v_xor_b32_e32 v1, v1, v16
	v_cmp_ne_u16_e32 vcc, s10, v1
	v_cndmask_b32_e32 v1, v15, v1, vcc
	v_lshlrev_b32_sdwa v1, s9, v1 dst_sel:DWORD dst_unused:UNUSED_PAD src0_sel:DWORD src1_sel:WORD_0
	v_lshrrev_b32_e32 v1, s8, v1
	v_and_b32_e32 v1, 0xffff, v1
	v_cndmask_b32_e64 v1, v1, 0, s[4:5]
	v_and_b32_e32 v2, 1, v1
	v_add_co_u32_e32 v4, vcc, -1, v2
	v_addc_co_u32_e64 v19, s[0:1], 0, -1, vcc
	v_cmp_ne_u32_e32 vcc, 0, v2
	v_xor_b32_e32 v4, vcc_lo, v4
	v_xor_b32_e32 v2, vcc_hi, v19
	v_and_b32_e32 v19, exec_lo, v4
	v_lshlrev_b32_e32 v4, 30, v1
	v_cmp_gt_i64_e32 vcc, 0, v[3:4]
	v_not_b32_e32 v4, v4
	v_ashrrev_i32_e32 v4, 31, v4
	v_xor_b32_e32 v21, vcc_hi, v4
	v_xor_b32_e32 v4, vcc_lo, v4
	v_and_b32_e32 v19, v19, v4
	v_lshlrev_b32_e32 v4, 29, v1
	v_cmp_gt_i64_e32 vcc, 0, v[3:4]
	v_not_b32_e32 v4, v4
	v_and_b32_e32 v2, exec_hi, v2
	v_ashrrev_i32_e32 v4, 31, v4
	v_and_b32_e32 v2, v2, v21
	v_xor_b32_e32 v21, vcc_hi, v4
	v_xor_b32_e32 v4, vcc_lo, v4
	v_and_b32_e32 v19, v19, v4
	v_lshlrev_b32_e32 v4, 28, v1
	v_mad_u32_u24 v16, v1, 20, v17
	v_cmp_gt_i64_e32 vcc, 0, v[3:4]
	v_not_b32_e32 v1, v4
	v_ashrrev_i32_e32 v1, 31, v1
	v_xor_b32_e32 v3, vcc_hi, v1
	v_xor_b32_e32 v1, vcc_lo, v1
	; wave barrier
	ds_read_b32 v15, v16 offset:16
	v_and_b32_e32 v2, v2, v21
	v_and_b32_e32 v1, v19, v1
	;; [unrolled: 1-line block ×3, first 2 shown]
	v_mbcnt_lo_u32_b32 v3, v1, 0
	v_mbcnt_hi_u32_b32 v4, v2, v3
	v_cmp_ne_u64_e32 vcc, 0, v[1:2]
	v_cmp_eq_u32_e64 s[0:1], 0, v4
	s_and_b64 s[10:11], s[0:1], vcc
	; wave barrier
	s_and_saveexec_b64 s[0:1], s[10:11]
	s_cbranch_execz .LBB57_4
; %bb.3:
	v_bcnt_u32_b32 v1, v1, 0
	v_bcnt_u32_b32 v1, v2, v1
	s_waitcnt lgkmcnt(0)
	v_add_u32_e32 v1, v15, v1
	ds_write_b32 v16, v1 offset:16
.LBB57_4:
	s_or_b64 exec, exec, s[0:1]
	v_mov_b32_e32 v23, 0xffff8000
	v_cmp_lt_i16_e32 vcc, -1, v18
	v_cndmask_b32_e32 v1, -1, v23, vcc
	v_xor_b32_e32 v1, v1, v18
	s_movk_i32 s10, 0x7fff
	v_cmp_ne_u16_e32 vcc, s10, v1
	v_cndmask_b32_e32 v1, v23, v1, vcc
	v_lshlrev_b32_sdwa v1, s9, v1 dst_sel:DWORD dst_unused:UNUSED_PAD src0_sel:DWORD src1_sel:WORD_0
	v_lshrrev_b32_e32 v1, s8, v1
	v_and_b32_e32 v1, 0xffff, v1
	v_cndmask_b32_e64 v3, v1, 0, s[4:5]
	v_and_b32_e32 v2, 1, v3
	v_add_co_u32_e32 v21, vcc, -1, v2
	v_addc_co_u32_e64 v25, s[0:1], 0, -1, vcc
	v_cmp_ne_u32_e32 vcc, 0, v2
	v_xor_b32_e32 v2, vcc_hi, v25
	v_mov_b32_e32 v1, 0
	v_and_b32_e32 v25, exec_hi, v2
	v_lshlrev_b32_e32 v2, 30, v3
	v_xor_b32_e32 v21, vcc_lo, v21
	v_cmp_gt_i64_e32 vcc, 0, v[1:2]
	v_not_b32_e32 v2, v2
	v_ashrrev_i32_e32 v2, 31, v2
	v_and_b32_e32 v21, exec_lo, v21
	v_xor_b32_e32 v27, vcc_hi, v2
	v_xor_b32_e32 v2, vcc_lo, v2
	v_and_b32_e32 v21, v21, v2
	v_lshlrev_b32_e32 v2, 29, v3
	v_cmp_gt_i64_e32 vcc, 0, v[1:2]
	v_not_b32_e32 v2, v2
	v_ashrrev_i32_e32 v2, 31, v2
	v_and_b32_e32 v25, v25, v27
	v_xor_b32_e32 v27, vcc_hi, v2
	v_xor_b32_e32 v2, vcc_lo, v2
	v_and_b32_e32 v21, v21, v2
	v_lshlrev_b32_e32 v2, 28, v3
	v_cmp_gt_i64_e32 vcc, 0, v[1:2]
	v_not_b32_e32 v2, v2
	v_ashrrev_i32_e32 v2, 31, v2
	v_mad_u32_u24 v19, v3, 20, v17
	v_xor_b32_e32 v3, vcc_hi, v2
	v_xor_b32_e32 v2, vcc_lo, v2
	; wave barrier
	ds_read_b32 v18, v19 offset:16
	v_and_b32_e32 v25, v25, v27
	v_and_b32_e32 v2, v21, v2
	;; [unrolled: 1-line block ×3, first 2 shown]
	v_mbcnt_lo_u32_b32 v21, v2, 0
	v_mbcnt_hi_u32_b32 v21, v3, v21
	v_cmp_ne_u64_e32 vcc, 0, v[2:3]
	v_cmp_eq_u32_e64 s[0:1], 0, v21
	s_and_b64 s[12:13], s[0:1], vcc
	; wave barrier
	s_and_saveexec_b64 s[0:1], s[12:13]
	s_cbranch_execz .LBB57_6
; %bb.5:
	v_bcnt_u32_b32 v2, v2, 0
	v_bcnt_u32_b32 v2, v3, v2
	s_waitcnt lgkmcnt(0)
	v_add_u32_e32 v2, v18, v2
	ds_write_b32 v19, v2 offset:16
.LBB57_6:
	s_or_b64 exec, exec, s[0:1]
	v_cmp_lt_i16_e32 vcc, -1, v22
	v_cndmask_b32_e32 v2, -1, v23, vcc
	v_xor_b32_e32 v2, v2, v22
	v_cmp_ne_u16_e32 vcc, s10, v2
	v_cndmask_b32_e32 v2, v23, v2, vcc
	v_lshlrev_b32_sdwa v2, s9, v2 dst_sel:DWORD dst_unused:UNUSED_PAD src0_sel:DWORD src1_sel:WORD_0
	v_lshrrev_b32_e32 v2, s8, v2
	v_and_b32_e32 v2, 0xffff, v2
	v_cndmask_b32_e64 v3, v2, 0, s[4:5]
	v_and_b32_e32 v2, 1, v3
	v_add_co_u32_e32 v25, vcc, -1, v2
	v_addc_co_u32_e64 v27, s[0:1], 0, -1, vcc
	v_cmp_ne_u32_e32 vcc, 0, v2
	v_xor_b32_e32 v2, vcc_hi, v27
	v_and_b32_e32 v27, exec_hi, v2
	v_lshlrev_b32_e32 v2, 30, v3
	v_xor_b32_e32 v25, vcc_lo, v25
	v_cmp_gt_i64_e32 vcc, 0, v[1:2]
	v_not_b32_e32 v2, v2
	v_ashrrev_i32_e32 v2, 31, v2
	v_and_b32_e32 v25, exec_lo, v25
	v_xor_b32_e32 v29, vcc_hi, v2
	v_xor_b32_e32 v2, vcc_lo, v2
	v_and_b32_e32 v25, v25, v2
	v_lshlrev_b32_e32 v2, 29, v3
	v_cmp_gt_i64_e32 vcc, 0, v[1:2]
	v_not_b32_e32 v2, v2
	v_ashrrev_i32_e32 v2, 31, v2
	v_and_b32_e32 v27, v27, v29
	v_xor_b32_e32 v29, vcc_hi, v2
	v_xor_b32_e32 v2, vcc_lo, v2
	v_and_b32_e32 v25, v25, v2
	v_lshlrev_b32_e32 v2, 28, v3
	v_cmp_gt_i64_e32 vcc, 0, v[1:2]
	v_not_b32_e32 v1, v2
	v_ashrrev_i32_e32 v1, 31, v1
	v_mad_u32_u24 v23, v3, 20, v17
	v_xor_b32_e32 v2, vcc_hi, v1
	v_xor_b32_e32 v1, vcc_lo, v1
	; wave barrier
	ds_read_b32 v22, v23 offset:16
	v_and_b32_e32 v27, v27, v29
	v_and_b32_e32 v1, v25, v1
	;; [unrolled: 1-line block ×3, first 2 shown]
	v_mbcnt_lo_u32_b32 v3, v1, 0
	v_mbcnt_hi_u32_b32 v25, v2, v3
	v_cmp_ne_u64_e32 vcc, 0, v[1:2]
	v_cmp_eq_u32_e64 s[0:1], 0, v25
	s_and_b64 s[10:11], s[0:1], vcc
	; wave barrier
	s_and_saveexec_b64 s[0:1], s[10:11]
	s_cbranch_execz .LBB57_8
; %bb.7:
	v_bcnt_u32_b32 v1, v1, 0
	v_bcnt_u32_b32 v1, v2, v1
	s_waitcnt lgkmcnt(0)
	v_add_u32_e32 v1, v22, v1
	ds_write_b32 v23, v1 offset:16
.LBB57_8:
	s_or_b64 exec, exec, s[0:1]
	v_mov_b32_e32 v31, 0xffff8000
	v_cmp_lt_i16_e32 vcc, -1, v26
	v_cndmask_b32_e32 v1, -1, v31, vcc
	v_xor_b32_e32 v1, v1, v26
	s_movk_i32 s10, 0x7fff
	v_cmp_ne_u16_e32 vcc, s10, v1
	v_cndmask_b32_e32 v1, v31, v1, vcc
	v_lshlrev_b32_sdwa v1, s9, v1 dst_sel:DWORD dst_unused:UNUSED_PAD src0_sel:DWORD src1_sel:WORD_0
	v_lshrrev_b32_e32 v1, s8, v1
	v_and_b32_e32 v1, 0xffff, v1
	v_cndmask_b32_e64 v3, v1, 0, s[4:5]
	v_and_b32_e32 v2, 1, v3
	v_add_co_u32_e32 v29, vcc, -1, v2
	v_addc_co_u32_e64 v32, s[0:1], 0, -1, vcc
	v_cmp_ne_u32_e32 vcc, 0, v2
	v_xor_b32_e32 v2, vcc_hi, v32
	v_mov_b32_e32 v1, 0
	v_and_b32_e32 v32, exec_hi, v2
	v_lshlrev_b32_e32 v2, 30, v3
	v_xor_b32_e32 v29, vcc_lo, v29
	v_cmp_gt_i64_e32 vcc, 0, v[1:2]
	v_not_b32_e32 v2, v2
	v_ashrrev_i32_e32 v2, 31, v2
	v_and_b32_e32 v29, exec_lo, v29
	v_xor_b32_e32 v33, vcc_hi, v2
	v_xor_b32_e32 v2, vcc_lo, v2
	v_and_b32_e32 v29, v29, v2
	v_lshlrev_b32_e32 v2, 29, v3
	v_cmp_gt_i64_e32 vcc, 0, v[1:2]
	v_not_b32_e32 v2, v2
	v_ashrrev_i32_e32 v2, 31, v2
	v_and_b32_e32 v32, v32, v33
	v_xor_b32_e32 v33, vcc_hi, v2
	v_xor_b32_e32 v2, vcc_lo, v2
	v_and_b32_e32 v29, v29, v2
	v_lshlrev_b32_e32 v2, 28, v3
	v_cmp_gt_i64_e32 vcc, 0, v[1:2]
	v_not_b32_e32 v2, v2
	v_ashrrev_i32_e32 v2, 31, v2
	v_mad_u32_u24 v27, v3, 20, v17
	v_xor_b32_e32 v3, vcc_hi, v2
	v_xor_b32_e32 v2, vcc_lo, v2
	; wave barrier
	ds_read_b32 v26, v27 offset:16
	v_and_b32_e32 v32, v32, v33
	v_and_b32_e32 v2, v29, v2
	;; [unrolled: 1-line block ×3, first 2 shown]
	v_mbcnt_lo_u32_b32 v29, v2, 0
	v_mbcnt_hi_u32_b32 v29, v3, v29
	v_cmp_ne_u64_e32 vcc, 0, v[2:3]
	v_cmp_eq_u32_e64 s[0:1], 0, v29
	s_and_b64 s[12:13], s[0:1], vcc
	; wave barrier
	s_and_saveexec_b64 s[0:1], s[12:13]
	s_cbranch_execz .LBB57_10
; %bb.9:
	v_bcnt_u32_b32 v2, v2, 0
	v_bcnt_u32_b32 v2, v3, v2
	s_waitcnt lgkmcnt(0)
	v_add_u32_e32 v2, v26, v2
	ds_write_b32 v27, v2 offset:16
.LBB57_10:
	s_or_b64 exec, exec, s[0:1]
	v_cmp_lt_i16_e32 vcc, -1, v30
	v_cndmask_b32_e32 v2, -1, v31, vcc
	v_xor_b32_e32 v2, v2, v30
	v_cmp_ne_u16_e32 vcc, s10, v2
	v_cndmask_b32_e32 v2, v31, v2, vcc
	v_lshlrev_b32_sdwa v2, s9, v2 dst_sel:DWORD dst_unused:UNUSED_PAD src0_sel:DWORD src1_sel:WORD_0
	v_lshrrev_b32_e32 v2, s8, v2
	v_and_b32_e32 v2, 0xffff, v2
	v_cndmask_b32_e64 v3, v2, 0, s[4:5]
	v_and_b32_e32 v2, 1, v3
	v_add_co_u32_e32 v32, vcc, -1, v2
	v_addc_co_u32_e64 v33, s[0:1], 0, -1, vcc
	v_cmp_ne_u32_e32 vcc, 0, v2
	v_xor_b32_e32 v2, vcc_hi, v33
	v_and_b32_e32 v33, exec_hi, v2
	v_lshlrev_b32_e32 v2, 30, v3
	v_xor_b32_e32 v32, vcc_lo, v32
	v_cmp_gt_i64_e32 vcc, 0, v[1:2]
	v_not_b32_e32 v2, v2
	v_ashrrev_i32_e32 v2, 31, v2
	v_and_b32_e32 v32, exec_lo, v32
	v_xor_b32_e32 v34, vcc_hi, v2
	v_xor_b32_e32 v2, vcc_lo, v2
	v_and_b32_e32 v32, v32, v2
	v_lshlrev_b32_e32 v2, 29, v3
	v_cmp_gt_i64_e32 vcc, 0, v[1:2]
	v_not_b32_e32 v2, v2
	v_ashrrev_i32_e32 v2, 31, v2
	v_and_b32_e32 v33, v33, v34
	v_xor_b32_e32 v34, vcc_hi, v2
	v_xor_b32_e32 v2, vcc_lo, v2
	v_and_b32_e32 v32, v32, v2
	v_lshlrev_b32_e32 v2, 28, v3
	v_cmp_gt_i64_e32 vcc, 0, v[1:2]
	v_not_b32_e32 v1, v2
	v_ashrrev_i32_e32 v1, 31, v1
	v_mad_u32_u24 v31, v3, 20, v17
	v_xor_b32_e32 v2, vcc_hi, v1
	v_xor_b32_e32 v1, vcc_lo, v1
	; wave barrier
	ds_read_b32 v30, v31 offset:16
	v_and_b32_e32 v33, v33, v34
	v_and_b32_e32 v1, v32, v1
	;; [unrolled: 1-line block ×3, first 2 shown]
	v_mbcnt_lo_u32_b32 v3, v1, 0
	v_mbcnt_hi_u32_b32 v32, v2, v3
	v_cmp_ne_u64_e32 vcc, 0, v[1:2]
	v_cmp_eq_u32_e64 s[0:1], 0, v32
	s_and_b64 s[10:11], s[0:1], vcc
	; wave barrier
	s_and_saveexec_b64 s[0:1], s[10:11]
	s_cbranch_execz .LBB57_12
; %bb.11:
	v_bcnt_u32_b32 v1, v1, 0
	v_bcnt_u32_b32 v1, v2, v1
	s_waitcnt lgkmcnt(0)
	v_add_u32_e32 v1, v30, v1
	ds_write_b32 v31, v1 offset:16
.LBB57_12:
	s_or_b64 exec, exec, s[0:1]
	v_mov_b32_e32 v35, 0xffff8000
	v_cmp_lt_i16_e32 vcc, -1, v28
	v_cndmask_b32_e32 v1, -1, v35, vcc
	v_xor_b32_e32 v1, v1, v28
	s_movk_i32 s10, 0x7fff
	v_cmp_ne_u16_e32 vcc, s10, v1
	v_cndmask_b32_e32 v1, v35, v1, vcc
	v_lshlrev_b32_sdwa v1, s9, v1 dst_sel:DWORD dst_unused:UNUSED_PAD src0_sel:DWORD src1_sel:WORD_0
	v_lshrrev_b32_e32 v1, s8, v1
	v_and_b32_e32 v1, 0xffff, v1
	v_cndmask_b32_e64 v3, v1, 0, s[4:5]
	v_and_b32_e32 v2, 1, v3
	v_add_co_u32_e32 v34, vcc, -1, v2
	v_addc_co_u32_e64 v36, s[0:1], 0, -1, vcc
	v_cmp_ne_u32_e32 vcc, 0, v2
	v_xor_b32_e32 v2, vcc_hi, v36
	v_mov_b32_e32 v1, 0
	v_and_b32_e32 v36, exec_hi, v2
	v_lshlrev_b32_e32 v2, 30, v3
	v_xor_b32_e32 v34, vcc_lo, v34
	v_cmp_gt_i64_e32 vcc, 0, v[1:2]
	v_not_b32_e32 v2, v2
	v_ashrrev_i32_e32 v2, 31, v2
	v_and_b32_e32 v34, exec_lo, v34
	v_xor_b32_e32 v37, vcc_hi, v2
	v_xor_b32_e32 v2, vcc_lo, v2
	v_and_b32_e32 v34, v34, v2
	v_lshlrev_b32_e32 v2, 29, v3
	v_cmp_gt_i64_e32 vcc, 0, v[1:2]
	v_not_b32_e32 v2, v2
	v_ashrrev_i32_e32 v2, 31, v2
	v_and_b32_e32 v36, v36, v37
	v_xor_b32_e32 v37, vcc_hi, v2
	v_xor_b32_e32 v2, vcc_lo, v2
	v_and_b32_e32 v34, v34, v2
	v_lshlrev_b32_e32 v2, 28, v3
	v_cmp_gt_i64_e32 vcc, 0, v[1:2]
	v_not_b32_e32 v2, v2
	v_ashrrev_i32_e32 v2, 31, v2
	v_mad_u32_u24 v33, v3, 20, v17
	v_xor_b32_e32 v3, vcc_hi, v2
	v_xor_b32_e32 v2, vcc_lo, v2
	; wave barrier
	ds_read_b32 v28, v33 offset:16
	v_and_b32_e32 v36, v36, v37
	v_and_b32_e32 v2, v34, v2
	v_and_b32_e32 v3, v36, v3
	v_mbcnt_lo_u32_b32 v34, v2, 0
	v_mbcnt_hi_u32_b32 v34, v3, v34
	v_cmp_ne_u64_e32 vcc, 0, v[2:3]
	v_cmp_eq_u32_e64 s[0:1], 0, v34
	s_and_b64 s[12:13], s[0:1], vcc
	; wave barrier
	s_and_saveexec_b64 s[0:1], s[12:13]
	s_cbranch_execz .LBB57_14
; %bb.13:
	v_bcnt_u32_b32 v2, v2, 0
	v_bcnt_u32_b32 v2, v3, v2
	s_waitcnt lgkmcnt(0)
	v_add_u32_e32 v2, v28, v2
	ds_write_b32 v33, v2 offset:16
.LBB57_14:
	s_or_b64 exec, exec, s[0:1]
	v_cmp_lt_i16_e32 vcc, -1, v24
	v_cndmask_b32_e32 v2, -1, v35, vcc
	v_xor_b32_e32 v2, v2, v24
	v_cmp_ne_u16_e32 vcc, s10, v2
	v_cndmask_b32_e32 v2, v35, v2, vcc
	v_lshlrev_b32_sdwa v2, s9, v2 dst_sel:DWORD dst_unused:UNUSED_PAD src0_sel:DWORD src1_sel:WORD_0
	v_lshrrev_b32_e32 v2, s8, v2
	v_and_b32_e32 v2, 0xffff, v2
	v_cndmask_b32_e64 v35, v2, 0, s[4:5]
	v_and_b32_e32 v2, 1, v35
	v_add_co_u32_e32 v36, vcc, -1, v2
	v_addc_co_u32_e64 v37, s[0:1], 0, -1, vcc
	v_cmp_ne_u32_e32 vcc, 0, v2
	v_xor_b32_e32 v2, vcc_hi, v37
	v_and_b32_e32 v37, exec_hi, v2
	v_lshlrev_b32_e32 v2, 30, v35
	v_xor_b32_e32 v36, vcc_lo, v36
	v_cmp_gt_i64_e32 vcc, 0, v[1:2]
	v_not_b32_e32 v2, v2
	v_ashrrev_i32_e32 v2, 31, v2
	v_and_b32_e32 v36, exec_lo, v36
	v_xor_b32_e32 v38, vcc_hi, v2
	v_xor_b32_e32 v2, vcc_lo, v2
	v_and_b32_e32 v36, v36, v2
	v_lshlrev_b32_e32 v2, 29, v35
	v_cmp_gt_i64_e32 vcc, 0, v[1:2]
	v_not_b32_e32 v2, v2
	v_ashrrev_i32_e32 v2, 31, v2
	v_and_b32_e32 v37, v37, v38
	v_xor_b32_e32 v38, vcc_hi, v2
	v_xor_b32_e32 v2, vcc_lo, v2
	v_and_b32_e32 v36, v36, v2
	v_lshlrev_b32_e32 v2, 28, v35
	v_cmp_gt_i64_e32 vcc, 0, v[1:2]
	v_not_b32_e32 v1, v2
	v_ashrrev_i32_e32 v1, 31, v1
	v_mad_u32_u24 v24, v35, 20, v17
	v_xor_b32_e32 v2, vcc_hi, v1
	v_xor_b32_e32 v1, vcc_lo, v1
	; wave barrier
	ds_read_b32 v3, v24 offset:16
	v_and_b32_e32 v37, v37, v38
	v_and_b32_e32 v1, v36, v1
	;; [unrolled: 1-line block ×3, first 2 shown]
	v_mbcnt_lo_u32_b32 v35, v1, 0
	v_mbcnt_hi_u32_b32 v35, v2, v35
	v_cmp_ne_u64_e32 vcc, 0, v[1:2]
	v_cmp_eq_u32_e64 s[0:1], 0, v35
	s_and_b64 s[10:11], s[0:1], vcc
	; wave barrier
	s_and_saveexec_b64 s[0:1], s[10:11]
	s_cbranch_execz .LBB57_16
; %bb.15:
	v_bcnt_u32_b32 v1, v1, 0
	v_bcnt_u32_b32 v1, v2, v1
	s_waitcnt lgkmcnt(0)
	v_add_u32_e32 v1, v3, v1
	ds_write_b32 v24, v1 offset:16
.LBB57_16:
	s_or_b64 exec, exec, s[0:1]
	v_mov_b32_e32 v1, 0xffff8000
	v_cmp_lt_i16_e32 vcc, -1, v20
	v_cndmask_b32_e32 v2, -1, v1, vcc
	v_xor_b32_e32 v2, v2, v20
	s_movk_i32 s0, 0x7fff
	v_cmp_ne_u16_e32 vcc, s0, v2
	v_cndmask_b32_e32 v1, v1, v2, vcc
	v_lshlrev_b32_sdwa v1, s9, v1 dst_sel:DWORD dst_unused:UNUSED_PAD src0_sel:DWORD src1_sel:WORD_0
	v_lshrrev_b32_e32 v1, s8, v1
	v_and_b32_e32 v1, 0xffff, v1
	v_cndmask_b32_e64 v36, v1, 0, s[4:5]
	v_and_b32_e32 v2, 1, v36
	v_add_co_u32_e32 v37, vcc, -1, v2
	v_addc_co_u32_e64 v38, s[0:1], 0, -1, vcc
	v_cmp_ne_u32_e32 vcc, 0, v2
	v_xor_b32_e32 v2, vcc_hi, v38
	v_mov_b32_e32 v1, 0
	v_and_b32_e32 v38, exec_hi, v2
	v_lshlrev_b32_e32 v2, 30, v36
	v_xor_b32_e32 v37, vcc_lo, v37
	v_cmp_gt_i64_e32 vcc, 0, v[1:2]
	v_not_b32_e32 v2, v2
	v_ashrrev_i32_e32 v2, 31, v2
	v_and_b32_e32 v37, exec_lo, v37
	v_xor_b32_e32 v39, vcc_hi, v2
	v_xor_b32_e32 v2, vcc_lo, v2
	v_and_b32_e32 v37, v37, v2
	v_lshlrev_b32_e32 v2, 29, v36
	v_cmp_gt_i64_e32 vcc, 0, v[1:2]
	v_not_b32_e32 v2, v2
	v_ashrrev_i32_e32 v2, 31, v2
	v_and_b32_e32 v38, v38, v39
	v_xor_b32_e32 v39, vcc_hi, v2
	v_xor_b32_e32 v2, vcc_lo, v2
	v_and_b32_e32 v37, v37, v2
	v_lshlrev_b32_e32 v2, 28, v36
	v_cmp_gt_i64_e32 vcc, 0, v[1:2]
	v_not_b32_e32 v1, v2
	v_ashrrev_i32_e32 v1, 31, v1
	v_mad_u32_u24 v20, v36, 20, v17
	v_xor_b32_e32 v2, vcc_hi, v1
	v_xor_b32_e32 v1, vcc_lo, v1
	; wave barrier
	ds_read_b32 v17, v20 offset:16
	v_and_b32_e32 v38, v38, v39
	v_and_b32_e32 v1, v37, v1
	;; [unrolled: 1-line block ×3, first 2 shown]
	v_mbcnt_lo_u32_b32 v36, v1, 0
	v_mbcnt_hi_u32_b32 v36, v2, v36
	v_cmp_ne_u64_e32 vcc, 0, v[1:2]
	v_cmp_eq_u32_e64 s[0:1], 0, v36
	s_and_b64 s[4:5], s[0:1], vcc
	; wave barrier
	s_and_saveexec_b64 s[0:1], s[4:5]
	s_cbranch_execz .LBB57_18
; %bb.17:
	v_bcnt_u32_b32 v1, v1, 0
	v_bcnt_u32_b32 v1, v2, v1
	s_waitcnt lgkmcnt(0)
	v_add_u32_e32 v1, v17, v1
	ds_write_b32 v20, v1 offset:16
.LBB57_18:
	s_or_b64 exec, exec, s[0:1]
	; wave barrier
	s_waitcnt lgkmcnt(0)
	s_barrier
	ds_read_b32 v1, v9 offset:16
	v_and_b32_e32 v2, 15, v10
	v_cmp_ne_u32_e32 vcc, 0, v2
	s_waitcnt lgkmcnt(0)
	v_mov_b32_dpp v37, v1 row_shr:1 row_mask:0xf bank_mask:0xf
	v_cndmask_b32_e32 v37, 0, v37, vcc
	v_add_u32_e32 v1, v37, v1
	v_cmp_lt_u32_e32 vcc, 1, v2
	s_nop 0
	v_mov_b32_dpp v37, v1 row_shr:2 row_mask:0xf bank_mask:0xf
	v_cndmask_b32_e32 v37, 0, v37, vcc
	v_add_u32_e32 v1, v1, v37
	v_cmp_lt_u32_e32 vcc, 3, v2
	s_nop 0
	;; [unrolled: 5-line block ×3, first 2 shown]
	v_mov_b32_dpp v37, v1 row_shr:8 row_mask:0xf bank_mask:0xf
	v_cndmask_b32_e32 v2, 0, v37, vcc
	v_add_u32_e32 v1, v1, v2
	v_bfe_i32 v37, v10, 4, 1
	v_cmp_lt_u32_e32 vcc, 31, v10
	v_mov_b32_dpp v2, v1 row_bcast:15 row_mask:0xf bank_mask:0xf
	v_and_b32_e32 v2, v37, v2
	v_add_u32_e32 v1, v1, v2
	s_nop 1
	v_mov_b32_dpp v2, v1 row_bcast:31 row_mask:0xf bank_mask:0xf
	v_cndmask_b32_e32 v2, 0, v2, vcc
	v_add_u32_e32 v1, v1, v2
	v_min_u32_e32 v2, 0xaa, v12
	v_add_u32_e32 v2, 63, v2
	v_cmp_eq_u32_e32 vcc, v0, v2
	s_and_saveexec_b64 s[0:1], vcc
; %bb.19:
	v_lshlrev_b32_e32 v2, 2, v11
	ds_write_b32 v2, v1
; %bb.20:
	s_or_b64 exec, exec, s[0:1]
	v_cmp_gt_u32_e32 vcc, 4, v0
	s_waitcnt lgkmcnt(0)
	s_barrier
	s_and_saveexec_b64 s[0:1], vcc
	s_cbranch_execz .LBB57_22
; %bb.21:
	ds_read_b32 v2, v9
	v_and_b32_e32 v12, 3, v10
	v_cmp_ne_u32_e32 vcc, 0, v12
	s_waitcnt lgkmcnt(0)
	v_mov_b32_dpp v37, v2 row_shr:1 row_mask:0xf bank_mask:0xf
	v_cndmask_b32_e32 v37, 0, v37, vcc
	v_add_u32_e32 v2, v37, v2
	v_cmp_lt_u32_e32 vcc, 1, v12
	s_nop 0
	v_mov_b32_dpp v37, v2 row_shr:2 row_mask:0xf bank_mask:0xf
	v_cndmask_b32_e32 v12, 0, v37, vcc
	v_add_u32_e32 v2, v2, v12
	ds_write_b32 v9, v2
.LBB57_22:
	s_or_b64 exec, exec, s[0:1]
	v_cmp_lt_u32_e32 vcc, 63, v0
	v_mov_b32_e32 v0, 0
	s_waitcnt lgkmcnt(0)
	s_barrier
	s_and_saveexec_b64 s[0:1], vcc
; %bb.23:
	v_lshl_add_u32 v0, v11, 2, -4
	ds_read_b32 v0, v0
; %bb.24:
	s_or_b64 exec, exec, s[0:1]
	v_subrev_co_u32_e32 v2, vcc, 1, v10
	v_and_b32_e32 v11, 64, v10
	v_cmp_lt_i32_e64 s[0:1], v2, v11
	v_cndmask_b32_e64 v2, v2, v10, s[0:1]
	s_waitcnt lgkmcnt(0)
	v_add_u32_e32 v1, v0, v1
	v_lshlrev_b32_e32 v2, 2, v2
	ds_bpermute_b32 v1, v2, v1
	v_lshlrev_b32_e32 v8, 2, v8
	s_lshl_b64 s[0:1], s[6:7], 2
	s_add_u32 s0, s2, s0
	s_addc_u32 s1, s3, s1
	s_waitcnt lgkmcnt(0)
	v_cndmask_b32_e32 v0, v1, v0, vcc
	ds_write_b32 v9, v0 offset:16
	s_waitcnt lgkmcnt(0)
	s_barrier
	ds_read_b32 v0, v13 offset:16
	ds_read_b32 v1, v16 offset:16
	;; [unrolled: 1-line block ×8, first 2 shown]
	s_waitcnt lgkmcnt(7)
	v_add_u32_e32 v0, v0, v14
	s_waitcnt lgkmcnt(6)
	v_add3_u32 v1, v4, v15, v1
	s_waitcnt lgkmcnt(4)
	v_add3_u32 v4, v25, v22, v9
	ds_read_b32 v9, v20 offset:16
	s_waitcnt lgkmcnt(0)
	s_barrier
	ds_write_b32 v8, v0
	v_lshlrev_b32_e32 v0, 2, v7
	v_add_u32_e32 v7, v8, v0
	v_add3_u32 v2, v21, v18, v2
	ds_write_b32 v7, v1
	v_add_u32_e32 v1, v7, v0
	ds_write_b32 v1, v2
	v_add_u32_e32 v1, v1, v0
	v_add3_u32 v10, v29, v26, v10
	ds_write_b32 v1, v4
	v_add_u32_e32 v1, v1, v0
	v_add3_u32 v11, v32, v30, v11
	;; [unrolled: 3-line block ×3, first 2 shown]
	ds_write_b32 v1, v11
	v_add_u32_e32 v1, v1, v0
	ds_write_b32 v1, v12
	v_add_u32_e32 v1, v1, v0
	v_add3_u32 v3, v35, v3, v13
	v_add3_u32 v9, v36, v17, v9
	v_add_u32_e32 v0, v1, v0
	v_lshlrev_b32_e32 v4, 2, v6
	ds_write_b32 v1, v3
	ds_write_b32 v0, v9
	; wave barrier
	ds_read2_b32 v[0:1], v4 offset1:1
	ds_read2_b32 v[2:3], v4 offset0:2 offset1:3
	ds_read2_b32 v[6:7], v4 offset0:4 offset1:5
	;; [unrolled: 1-line block ×3, first 2 shown]
	ds_read_b32 v4, v4 offset:32
	v_lshlrev_b32_e32 v5, 2, v5
	s_waitcnt lgkmcnt(3)
	global_store_dwordx4 v5, v[0:3], s[0:1]
	s_waitcnt lgkmcnt(1)
	global_store_dwordx4 v5, v[6:9], s[0:1] offset:16
	s_waitcnt lgkmcnt(0)
	global_store_dword v5, v4, s[0:1] offset:32
	s_endpgm
	.section	.rodata,"a",@progbits
	.p2align	6, 0x0
	.amdhsa_kernel _Z11rank_kernelILj234ELj9ELj4ELb0EL18RadixRankAlgorithm2E6__halfEvPKT4_Pijj
		.amdhsa_group_segment_fixed_size 8432
		.amdhsa_private_segment_fixed_size 0
		.amdhsa_kernarg_size 280
		.amdhsa_user_sgpr_count 6
		.amdhsa_user_sgpr_private_segment_buffer 1
		.amdhsa_user_sgpr_dispatch_ptr 0
		.amdhsa_user_sgpr_queue_ptr 0
		.amdhsa_user_sgpr_kernarg_segment_ptr 1
		.amdhsa_user_sgpr_dispatch_id 0
		.amdhsa_user_sgpr_flat_scratch_init 0
		.amdhsa_user_sgpr_private_segment_size 0
		.amdhsa_uses_dynamic_stack 0
		.amdhsa_system_sgpr_private_segment_wavefront_offset 0
		.amdhsa_system_sgpr_workgroup_id_x 1
		.amdhsa_system_sgpr_workgroup_id_y 0
		.amdhsa_system_sgpr_workgroup_id_z 0
		.amdhsa_system_sgpr_workgroup_info 0
		.amdhsa_system_vgpr_workitem_id 2
		.amdhsa_next_free_vgpr 40
		.amdhsa_next_free_sgpr 77
		.amdhsa_reserve_vcc 1
		.amdhsa_reserve_flat_scratch 0
		.amdhsa_float_round_mode_32 0
		.amdhsa_float_round_mode_16_64 0
		.amdhsa_float_denorm_mode_32 3
		.amdhsa_float_denorm_mode_16_64 3
		.amdhsa_dx10_clamp 1
		.amdhsa_ieee_mode 1
		.amdhsa_fp16_overflow 0
		.amdhsa_exception_fp_ieee_invalid_op 0
		.amdhsa_exception_fp_denorm_src 0
		.amdhsa_exception_fp_ieee_div_zero 0
		.amdhsa_exception_fp_ieee_overflow 0
		.amdhsa_exception_fp_ieee_underflow 0
		.amdhsa_exception_fp_ieee_inexact 0
		.amdhsa_exception_int_div_zero 0
	.end_amdhsa_kernel
	.section	.text._Z11rank_kernelILj234ELj9ELj4ELb0EL18RadixRankAlgorithm2E6__halfEvPKT4_Pijj,"axG",@progbits,_Z11rank_kernelILj234ELj9ELj4ELb0EL18RadixRankAlgorithm2E6__halfEvPKT4_Pijj,comdat
.Lfunc_end57:
	.size	_Z11rank_kernelILj234ELj9ELj4ELb0EL18RadixRankAlgorithm2E6__halfEvPKT4_Pijj, .Lfunc_end57-_Z11rank_kernelILj234ELj9ELj4ELb0EL18RadixRankAlgorithm2E6__halfEvPKT4_Pijj
                                        ; -- End function
	.set _Z11rank_kernelILj234ELj9ELj4ELb0EL18RadixRankAlgorithm2E6__halfEvPKT4_Pijj.num_vgpr, 40
	.set _Z11rank_kernelILj234ELj9ELj4ELb0EL18RadixRankAlgorithm2E6__halfEvPKT4_Pijj.num_agpr, 0
	.set _Z11rank_kernelILj234ELj9ELj4ELb0EL18RadixRankAlgorithm2E6__halfEvPKT4_Pijj.numbered_sgpr, 14
	.set _Z11rank_kernelILj234ELj9ELj4ELb0EL18RadixRankAlgorithm2E6__halfEvPKT4_Pijj.num_named_barrier, 0
	.set _Z11rank_kernelILj234ELj9ELj4ELb0EL18RadixRankAlgorithm2E6__halfEvPKT4_Pijj.private_seg_size, 0
	.set _Z11rank_kernelILj234ELj9ELj4ELb0EL18RadixRankAlgorithm2E6__halfEvPKT4_Pijj.uses_vcc, 1
	.set _Z11rank_kernelILj234ELj9ELj4ELb0EL18RadixRankAlgorithm2E6__halfEvPKT4_Pijj.uses_flat_scratch, 0
	.set _Z11rank_kernelILj234ELj9ELj4ELb0EL18RadixRankAlgorithm2E6__halfEvPKT4_Pijj.has_dyn_sized_stack, 0
	.set _Z11rank_kernelILj234ELj9ELj4ELb0EL18RadixRankAlgorithm2E6__halfEvPKT4_Pijj.has_recursion, 0
	.set _Z11rank_kernelILj234ELj9ELj4ELb0EL18RadixRankAlgorithm2E6__halfEvPKT4_Pijj.has_indirect_call, 0
	.section	.AMDGPU.csdata,"",@progbits
; Kernel info:
; codeLenInByte = 3664
; TotalNumSgprs: 18
; NumVgprs: 40
; ScratchSize: 0
; MemoryBound: 0
; FloatMode: 240
; IeeeMode: 1
; LDSByteSize: 8432 bytes/workgroup (compile time only)
; SGPRBlocks: 10
; VGPRBlocks: 9
; NumSGPRsForWavesPerEU: 81
; NumVGPRsForWavesPerEU: 40
; Occupancy: 6
; WaveLimiterHint : 0
; COMPUTE_PGM_RSRC2:SCRATCH_EN: 0
; COMPUTE_PGM_RSRC2:USER_SGPR: 6
; COMPUTE_PGM_RSRC2:TRAP_HANDLER: 0
; COMPUTE_PGM_RSRC2:TGID_X_EN: 1
; COMPUTE_PGM_RSRC2:TGID_Y_EN: 0
; COMPUTE_PGM_RSRC2:TGID_Z_EN: 0
; COMPUTE_PGM_RSRC2:TIDIG_COMP_CNT: 2
	.section	.text._Z11rank_kernelILj100ELj3ELj4ELb0EL18RadixRankAlgorithm2EtEvPKT4_Pijj,"axG",@progbits,_Z11rank_kernelILj100ELj3ELj4ELb0EL18RadixRankAlgorithm2EtEvPKT4_Pijj,comdat
	.protected	_Z11rank_kernelILj100ELj3ELj4ELb0EL18RadixRankAlgorithm2EtEvPKT4_Pijj ; -- Begin function _Z11rank_kernelILj100ELj3ELj4ELb0EL18RadixRankAlgorithm2EtEvPKT4_Pijj
	.globl	_Z11rank_kernelILj100ELj3ELj4ELb0EL18RadixRankAlgorithm2EtEvPKT4_Pijj
	.p2align	8
	.type	_Z11rank_kernelILj100ELj3ELj4ELb0EL18RadixRankAlgorithm2EtEvPKT4_Pijj,@function
_Z11rank_kernelILj100ELj3ELj4ELb0EL18RadixRankAlgorithm2EtEvPKT4_Pijj: ; @_Z11rank_kernelILj100ELj3ELj4ELb0EL18RadixRankAlgorithm2EtEvPKT4_Pijj
; %bb.0:
	s_load_dwordx4 s[0:3], s[4:5], 0x0
	s_load_dwordx2 s[8:9], s[4:5], 0x10
	s_mulk_i32 s6, 0x12c
	s_mov_b32 s7, 0
	s_lshl_b64 s[10:11], s[6:7], 1
	s_waitcnt lgkmcnt(0)
	s_add_u32 s0, s0, s10
	v_mul_u32_u24_e32 v5, 3, v0
	s_addc_u32 s1, s1, s11
	v_lshlrev_b32_e32 v3, 1, v5
	global_load_dword v4, v3, s[0:1]
	global_load_ushort v13, v3, s[0:1] offset:4
	s_load_dword s1, s[4:5], 0x24
	v_mbcnt_lo_u32_b32 v6, -1, 0
	s_movk_i32 s0, 0xc0
	v_mbcnt_hi_u32_b32 v6, -1, v6
	v_lshrrev_b32_e32 v9, 6, v0
	v_and_b32_e32 v12, 64, v0
	v_cmp_ne_u32_e32 vcc, 0, v12
	v_mad_u32_u24 v10, v9, s0, v6
	s_waitcnt lgkmcnt(0)
	s_lshr_b32 s0, s1, 16
	v_mul_u32_u24_e32 v7, 0xc0, v9
	v_cndmask_b32_e64 v8, 64, 36, vcc
	s_and_b32 s1, s1, 0xffff
	v_mad_u32_u24 v1, v2, s0, v1
	v_mad_u32_u24 v7, v6, 3, v7
	v_lshlrev_b32_e32 v14, 1, v10
	v_lshlrev_b32_e32 v15, 1, v8
	s_and_b32 s9, s9, 31
	v_mad_u32_u24 v1, v1, s1, v0
	v_lshlrev_b32_e32 v16, 1, v7
	v_add_u32_e32 v17, v14, v15
	s_cmp_eq_u32 s9, 0
	v_lshrrev_b32_e32 v1, 4, v1
	v_add_u32_e32 v18, v17, v15
	s_cselect_b64 s[4:5], -1, 0
	s_and_b32 s0, s8, 31
	v_and_b32_e32 v15, 0xffffffc, v1
	s_add_i32 s0, s0, s9
	s_sub_i32 s8, 32, s9
	s_sub_i32 s9, 32, s0
	v_mov_b32_e32 v3, 0
	v_lshlrev_b32_e32 v11, 2, v0
	s_waitcnt vmcnt(1)
	ds_write_b32 v16, v4
	s_waitcnt vmcnt(0)
	ds_write_b16 v16, v13 offset:4
	; wave barrier
	ds_read_u16 v1, v14
	ds_read_u16 v16, v17
	;; [unrolled: 1-line block ×3, first 2 shown]
	s_waitcnt lgkmcnt(0)
	s_barrier
	v_lshlrev_b32_e32 v1, s9, v1
	v_bfe_u32 v1, v1, s8, 16
	v_cndmask_b32_e64 v1, v1, 0, s[4:5]
	v_and_b32_e32 v2, 1, v1
	v_add_co_u32_e32 v13, vcc, -1, v2
	v_lshlrev_b32_e32 v4, 30, v1
	v_addc_co_u32_e64 v18, s[0:1], 0, -1, vcc
	v_cmp_ne_u32_e32 vcc, 0, v2
	v_cmp_gt_i64_e64 s[0:1], 0, v[3:4]
	v_not_b32_e32 v2, v4
	v_lshlrev_b32_e32 v4, 29, v1
	v_xor_b32_e32 v18, vcc_hi, v18
	v_xor_b32_e32 v13, vcc_lo, v13
	v_ashrrev_i32_e32 v2, 31, v2
	v_cmp_gt_i64_e32 vcc, 0, v[3:4]
	v_not_b32_e32 v19, v4
	v_lshlrev_b32_e32 v4, 28, v1
	v_mul_u32_u24_e32 v14, 12, v1
	v_and_b32_e32 v1, exec_hi, v18
	v_and_b32_e32 v13, exec_lo, v13
	v_xor_b32_e32 v18, s1, v2
	v_xor_b32_e32 v2, s0, v2
	v_ashrrev_i32_e32 v19, 31, v19
	v_cmp_gt_i64_e64 s[0:1], 0, v[3:4]
	v_not_b32_e32 v4, v4
	v_and_b32_e32 v1, v1, v18
	v_and_b32_e32 v2, v13, v2
	v_xor_b32_e32 v13, vcc_hi, v19
	v_xor_b32_e32 v18, vcc_lo, v19
	v_ashrrev_i32_e32 v4, 31, v4
	v_and_b32_e32 v1, v1, v13
	v_and_b32_e32 v13, v2, v18
	v_xor_b32_e32 v2, s1, v4
	v_xor_b32_e32 v4, s0, v4
	v_and_b32_e32 v2, v1, v2
	v_and_b32_e32 v1, v13, v4
	v_mbcnt_lo_u32_b32 v4, v1, 0
	v_cmp_ne_u64_e32 vcc, 0, v[1:2]
	v_mbcnt_hi_u32_b32 v13, v2, v4
	v_cmp_eq_u32_e64 s[0:1], 0, v13
	s_and_b64 s[10:11], vcc, s[0:1]
	v_add_u32_e32 v14, v15, v14
	ds_write_b32 v11, v3 offset:8
	s_waitcnt lgkmcnt(0)
	s_barrier
	; wave barrier
	s_and_saveexec_b64 s[0:1], s[10:11]
; %bb.1:
	v_bcnt_u32_b32 v1, v1, 0
	v_bcnt_u32_b32 v1, v2, v1
	ds_write_b32 v14, v1 offset:8
; %bb.2:
	s_or_b64 exec, exec, s[0:1]
	v_lshlrev_b32_sdwa v1, s9, v16 dst_sel:DWORD dst_unused:UNUSED_PAD src0_sel:DWORD src1_sel:WORD_0
	v_lshrrev_b32_e32 v1, s8, v1
	v_and_b32_e32 v1, 0xffff, v1
	v_cndmask_b32_e64 v1, v1, 0, s[4:5]
	v_mad_u32_u24 v2, v1, 12, v15
	; wave barrier
	ds_read_b32 v16, v2 offset:8
	v_and_b32_e32 v2, 1, v1
	v_add_co_u32_e32 v4, vcc, -1, v2
	v_addc_co_u32_e64 v19, s[0:1], 0, -1, vcc
	v_cmp_ne_u32_e32 vcc, 0, v2
	v_xor_b32_e32 v4, vcc_lo, v4
	v_xor_b32_e32 v2, vcc_hi, v19
	v_and_b32_e32 v19, exec_lo, v4
	v_lshlrev_b32_e32 v4, 30, v1
	v_cmp_gt_i64_e32 vcc, 0, v[3:4]
	v_not_b32_e32 v4, v4
	v_ashrrev_i32_e32 v4, 31, v4
	v_xor_b32_e32 v20, vcc_hi, v4
	v_xor_b32_e32 v4, vcc_lo, v4
	v_and_b32_e32 v19, v19, v4
	v_lshlrev_b32_e32 v4, 29, v1
	v_cmp_gt_i64_e32 vcc, 0, v[3:4]
	v_not_b32_e32 v4, v4
	v_and_b32_e32 v2, exec_hi, v2
	v_ashrrev_i32_e32 v4, 31, v4
	v_and_b32_e32 v2, v2, v20
	v_xor_b32_e32 v20, vcc_hi, v4
	v_xor_b32_e32 v4, vcc_lo, v4
	v_and_b32_e32 v19, v19, v4
	v_lshlrev_b32_e32 v4, 28, v1
	v_mul_u32_u24_e32 v18, 12, v1
	v_cmp_gt_i64_e32 vcc, 0, v[3:4]
	v_not_b32_e32 v1, v4
	v_ashrrev_i32_e32 v1, 31, v1
	v_xor_b32_e32 v3, vcc_hi, v1
	v_xor_b32_e32 v1, vcc_lo, v1
	v_and_b32_e32 v2, v2, v20
	v_and_b32_e32 v1, v19, v1
	;; [unrolled: 1-line block ×3, first 2 shown]
	v_mbcnt_lo_u32_b32 v3, v1, 0
	v_mbcnt_hi_u32_b32 v3, v2, v3
	v_cmp_ne_u64_e32 vcc, 0, v[1:2]
	v_cmp_eq_u32_e64 s[0:1], 0, v3
	s_and_b64 s[10:11], vcc, s[0:1]
	v_add_u32_e32 v4, v15, v18
	; wave barrier
	s_and_saveexec_b64 s[0:1], s[10:11]
	s_cbranch_execz .LBB58_4
; %bb.3:
	v_bcnt_u32_b32 v1, v1, 0
	v_bcnt_u32_b32 v1, v2, v1
	s_waitcnt lgkmcnt(0)
	v_add_u32_e32 v1, v16, v1
	ds_write_b32 v4, v1 offset:8
.LBB58_4:
	s_or_b64 exec, exec, s[0:1]
	v_lshlrev_b32_sdwa v1, s9, v17 dst_sel:DWORD dst_unused:UNUSED_PAD src0_sel:DWORD src1_sel:WORD_0
	v_lshrrev_b32_e32 v1, s8, v1
	v_and_b32_e32 v1, 0xffff, v1
	v_cndmask_b32_e64 v18, v1, 0, s[4:5]
	v_and_b32_e32 v2, 1, v18
	v_add_co_u32_e32 v20, vcc, -1, v2
	v_addc_co_u32_e64 v21, s[0:1], 0, -1, vcc
	v_cmp_ne_u32_e32 vcc, 0, v2
	v_mad_u32_u24 v1, v18, 12, v15
	v_xor_b32_e32 v2, vcc_hi, v21
	; wave barrier
	ds_read_b32 v17, v1 offset:8
	v_mov_b32_e32 v1, 0
	v_and_b32_e32 v21, exec_hi, v2
	v_lshlrev_b32_e32 v2, 30, v18
	v_xor_b32_e32 v20, vcc_lo, v20
	v_cmp_gt_i64_e32 vcc, 0, v[1:2]
	v_not_b32_e32 v2, v2
	v_ashrrev_i32_e32 v2, 31, v2
	v_and_b32_e32 v20, exec_lo, v20
	v_xor_b32_e32 v22, vcc_hi, v2
	v_xor_b32_e32 v2, vcc_lo, v2
	v_and_b32_e32 v20, v20, v2
	v_lshlrev_b32_e32 v2, 29, v18
	v_cmp_gt_i64_e32 vcc, 0, v[1:2]
	v_not_b32_e32 v2, v2
	v_ashrrev_i32_e32 v2, 31, v2
	v_and_b32_e32 v21, v21, v22
	v_xor_b32_e32 v22, vcc_hi, v2
	v_xor_b32_e32 v2, vcc_lo, v2
	v_and_b32_e32 v20, v20, v2
	v_lshlrev_b32_e32 v2, 28, v18
	v_cmp_gt_i64_e32 vcc, 0, v[1:2]
	v_not_b32_e32 v1, v2
	v_ashrrev_i32_e32 v1, 31, v1
	v_xor_b32_e32 v2, vcc_hi, v1
	v_xor_b32_e32 v1, vcc_lo, v1
	v_and_b32_e32 v21, v21, v22
	v_and_b32_e32 v1, v20, v1
	v_mul_u32_u24_e32 v19, 12, v18
	v_and_b32_e32 v2, v21, v2
	v_mbcnt_lo_u32_b32 v18, v1, 0
	v_mbcnt_hi_u32_b32 v18, v2, v18
	v_cmp_ne_u64_e32 vcc, 0, v[1:2]
	v_cmp_eq_u32_e64 s[0:1], 0, v18
	s_and_b64 s[4:5], vcc, s[0:1]
	v_add_u32_e32 v15, v15, v19
	; wave barrier
	s_and_saveexec_b64 s[0:1], s[4:5]
	s_cbranch_execz .LBB58_6
; %bb.5:
	v_bcnt_u32_b32 v1, v1, 0
	v_bcnt_u32_b32 v1, v2, v1
	s_waitcnt lgkmcnt(0)
	v_add_u32_e32 v1, v17, v1
	ds_write_b32 v15, v1 offset:8
.LBB58_6:
	s_or_b64 exec, exec, s[0:1]
	; wave barrier
	s_waitcnt lgkmcnt(0)
	s_barrier
	ds_read_b32 v1, v11 offset:8
	v_and_b32_e32 v2, 15, v6
	v_cmp_ne_u32_e32 vcc, 0, v2
	s_waitcnt lgkmcnt(0)
	v_mov_b32_dpp v19, v1 row_shr:1 row_mask:0xf bank_mask:0xf
	v_cndmask_b32_e32 v19, 0, v19, vcc
	v_add_u32_e32 v1, v19, v1
	v_cmp_lt_u32_e32 vcc, 1, v2
	s_nop 0
	v_mov_b32_dpp v19, v1 row_shr:2 row_mask:0xf bank_mask:0xf
	v_cndmask_b32_e32 v19, 0, v19, vcc
	v_add_u32_e32 v1, v1, v19
	v_cmp_lt_u32_e32 vcc, 3, v2
	s_nop 0
	;; [unrolled: 5-line block ×3, first 2 shown]
	v_mov_b32_dpp v19, v1 row_shr:8 row_mask:0xf bank_mask:0xf
	v_cndmask_b32_e32 v2, 0, v19, vcc
	v_add_u32_e32 v1, v1, v2
	v_bfe_i32 v19, v6, 4, 1
	v_cmp_lt_u32_e32 vcc, 31, v6
	v_mov_b32_dpp v2, v1 row_bcast:15 row_mask:0xf bank_mask:0xf
	v_and_b32_e32 v2, v19, v2
	v_add_u32_e32 v1, v1, v2
	s_nop 1
	v_mov_b32_dpp v2, v1 row_bcast:31 row_mask:0xf bank_mask:0xf
	v_cndmask_b32_e32 v2, 0, v2, vcc
	v_add_u32_e32 v1, v1, v2
	v_min_u32_e32 v2, 36, v12
	v_add_u32_e32 v2, 63, v2
	v_cmp_eq_u32_e32 vcc, v0, v2
	s_and_saveexec_b64 s[0:1], vcc
; %bb.7:
	v_lshlrev_b32_e32 v2, 2, v9
	ds_write_b32 v2, v1
; %bb.8:
	s_or_b64 exec, exec, s[0:1]
	v_cmp_gt_u32_e32 vcc, 2, v0
	s_waitcnt lgkmcnt(0)
	s_barrier
	s_and_saveexec_b64 s[0:1], vcc
	s_cbranch_execz .LBB58_10
; %bb.9:
	ds_read_b32 v2, v11
	v_bfe_i32 v12, v6, 0, 1
	s_waitcnt lgkmcnt(0)
	v_mov_b32_dpp v19, v2 row_shr:1 row_mask:0xf bank_mask:0xf
	v_and_b32_e32 v12, v12, v19
	v_add_u32_e32 v2, v12, v2
	ds_write_b32 v11, v2
.LBB58_10:
	s_or_b64 exec, exec, s[0:1]
	v_cmp_lt_u32_e32 vcc, 63, v0
	v_mov_b32_e32 v0, 0
	s_waitcnt lgkmcnt(0)
	s_barrier
	s_and_saveexec_b64 s[0:1], vcc
; %bb.11:
	v_lshl_add_u32 v0, v9, 2, -4
	ds_read_b32 v0, v0
; %bb.12:
	s_or_b64 exec, exec, s[0:1]
	v_subrev_co_u32_e32 v2, vcc, 1, v6
	v_and_b32_e32 v9, 64, v6
	v_cmp_lt_i32_e64 s[0:1], v2, v9
	v_cndmask_b32_e64 v2, v2, v6, s[0:1]
	s_waitcnt lgkmcnt(0)
	v_add_u32_e32 v1, v0, v1
	v_lshlrev_b32_e32 v2, 2, v2
	ds_bpermute_b32 v1, v2, v1
	s_lshl_b64 s[0:1], s[6:7], 2
	s_add_u32 s0, s2, s0
	s_addc_u32 s1, s3, s1
	s_waitcnt lgkmcnt(0)
	v_cndmask_b32_e32 v0, v1, v0, vcc
	ds_write_b32 v11, v0 offset:8
	s_waitcnt lgkmcnt(0)
	s_barrier
	ds_read_b32 v0, v14 offset:8
	ds_read_b32 v1, v4 offset:8
	;; [unrolled: 1-line block ×3, first 2 shown]
	s_waitcnt lgkmcnt(0)
	s_barrier
	v_add_u32_e32 v0, v0, v13
	v_add3_u32 v1, v3, v16, v1
	v_lshlrev_b32_e32 v3, 2, v10
	ds_write_b32 v3, v0
	v_lshlrev_b32_e32 v0, 2, v8
	v_add_u32_e32 v3, v3, v0
	v_add3_u32 v2, v18, v17, v2
	v_add_u32_e32 v0, v3, v0
	ds_write_b32 v0, v2
	v_lshlrev_b32_e32 v2, 2, v7
	ds_write_b32 v3, v1
	; wave barrier
	ds_read2_b32 v[0:1], v2 offset1:1
	ds_read_b32 v2, v2 offset:8
	v_lshlrev_b32_e32 v3, 2, v5
	s_waitcnt lgkmcnt(0)
	global_store_dwordx3 v3, v[0:2], s[0:1]
	s_endpgm
	.section	.rodata,"a",@progbits
	.p2align	6, 0x0
	.amdhsa_kernel _Z11rank_kernelILj100ELj3ELj4ELb0EL18RadixRankAlgorithm2EtEvPKT4_Pijj
		.amdhsa_group_segment_fixed_size 1200
		.amdhsa_private_segment_fixed_size 0
		.amdhsa_kernarg_size 280
		.amdhsa_user_sgpr_count 6
		.amdhsa_user_sgpr_private_segment_buffer 1
		.amdhsa_user_sgpr_dispatch_ptr 0
		.amdhsa_user_sgpr_queue_ptr 0
		.amdhsa_user_sgpr_kernarg_segment_ptr 1
		.amdhsa_user_sgpr_dispatch_id 0
		.amdhsa_user_sgpr_flat_scratch_init 0
		.amdhsa_user_sgpr_private_segment_size 0
		.amdhsa_uses_dynamic_stack 0
		.amdhsa_system_sgpr_private_segment_wavefront_offset 0
		.amdhsa_system_sgpr_workgroup_id_x 1
		.amdhsa_system_sgpr_workgroup_id_y 0
		.amdhsa_system_sgpr_workgroup_id_z 0
		.amdhsa_system_sgpr_workgroup_info 0
		.amdhsa_system_vgpr_workitem_id 2
		.amdhsa_next_free_vgpr 23
		.amdhsa_next_free_sgpr 12
		.amdhsa_reserve_vcc 1
		.amdhsa_reserve_flat_scratch 0
		.amdhsa_float_round_mode_32 0
		.amdhsa_float_round_mode_16_64 0
		.amdhsa_float_denorm_mode_32 3
		.amdhsa_float_denorm_mode_16_64 3
		.amdhsa_dx10_clamp 1
		.amdhsa_ieee_mode 1
		.amdhsa_fp16_overflow 0
		.amdhsa_exception_fp_ieee_invalid_op 0
		.amdhsa_exception_fp_denorm_src 0
		.amdhsa_exception_fp_ieee_div_zero 0
		.amdhsa_exception_fp_ieee_overflow 0
		.amdhsa_exception_fp_ieee_underflow 0
		.amdhsa_exception_fp_ieee_inexact 0
		.amdhsa_exception_int_div_zero 0
	.end_amdhsa_kernel
	.section	.text._Z11rank_kernelILj100ELj3ELj4ELb0EL18RadixRankAlgorithm2EtEvPKT4_Pijj,"axG",@progbits,_Z11rank_kernelILj100ELj3ELj4ELb0EL18RadixRankAlgorithm2EtEvPKT4_Pijj,comdat
.Lfunc_end58:
	.size	_Z11rank_kernelILj100ELj3ELj4ELb0EL18RadixRankAlgorithm2EtEvPKT4_Pijj, .Lfunc_end58-_Z11rank_kernelILj100ELj3ELj4ELb0EL18RadixRankAlgorithm2EtEvPKT4_Pijj
                                        ; -- End function
	.set _Z11rank_kernelILj100ELj3ELj4ELb0EL18RadixRankAlgorithm2EtEvPKT4_Pijj.num_vgpr, 23
	.set _Z11rank_kernelILj100ELj3ELj4ELb0EL18RadixRankAlgorithm2EtEvPKT4_Pijj.num_agpr, 0
	.set _Z11rank_kernelILj100ELj3ELj4ELb0EL18RadixRankAlgorithm2EtEvPKT4_Pijj.numbered_sgpr, 12
	.set _Z11rank_kernelILj100ELj3ELj4ELb0EL18RadixRankAlgorithm2EtEvPKT4_Pijj.num_named_barrier, 0
	.set _Z11rank_kernelILj100ELj3ELj4ELb0EL18RadixRankAlgorithm2EtEvPKT4_Pijj.private_seg_size, 0
	.set _Z11rank_kernelILj100ELj3ELj4ELb0EL18RadixRankAlgorithm2EtEvPKT4_Pijj.uses_vcc, 1
	.set _Z11rank_kernelILj100ELj3ELj4ELb0EL18RadixRankAlgorithm2EtEvPKT4_Pijj.uses_flat_scratch, 0
	.set _Z11rank_kernelILj100ELj3ELj4ELb0EL18RadixRankAlgorithm2EtEvPKT4_Pijj.has_dyn_sized_stack, 0
	.set _Z11rank_kernelILj100ELj3ELj4ELb0EL18RadixRankAlgorithm2EtEvPKT4_Pijj.has_recursion, 0
	.set _Z11rank_kernelILj100ELj3ELj4ELb0EL18RadixRankAlgorithm2EtEvPKT4_Pijj.has_indirect_call, 0
	.section	.AMDGPU.csdata,"",@progbits
; Kernel info:
; codeLenInByte = 1580
; TotalNumSgprs: 16
; NumVgprs: 23
; ScratchSize: 0
; MemoryBound: 0
; FloatMode: 240
; IeeeMode: 1
; LDSByteSize: 1200 bytes/workgroup (compile time only)
; SGPRBlocks: 1
; VGPRBlocks: 5
; NumSGPRsForWavesPerEU: 16
; NumVGPRsForWavesPerEU: 23
; Occupancy: 10
; WaveLimiterHint : 0
; COMPUTE_PGM_RSRC2:SCRATCH_EN: 0
; COMPUTE_PGM_RSRC2:USER_SGPR: 6
; COMPUTE_PGM_RSRC2:TRAP_HANDLER: 0
; COMPUTE_PGM_RSRC2:TGID_X_EN: 1
; COMPUTE_PGM_RSRC2:TGID_Y_EN: 0
; COMPUTE_PGM_RSRC2:TGID_Z_EN: 0
; COMPUTE_PGM_RSRC2:TIDIG_COMP_CNT: 2
	.section	.text._Z11rank_kernelILj464ELj2ELj4ELb1EL18RadixRankAlgorithm2EcEvPKT4_Pijj,"axG",@progbits,_Z11rank_kernelILj464ELj2ELj4ELb1EL18RadixRankAlgorithm2EcEvPKT4_Pijj,comdat
	.protected	_Z11rank_kernelILj464ELj2ELj4ELb1EL18RadixRankAlgorithm2EcEvPKT4_Pijj ; -- Begin function _Z11rank_kernelILj464ELj2ELj4ELb1EL18RadixRankAlgorithm2EcEvPKT4_Pijj
	.globl	_Z11rank_kernelILj464ELj2ELj4ELb1EL18RadixRankAlgorithm2EcEvPKT4_Pijj
	.p2align	8
	.type	_Z11rank_kernelILj464ELj2ELj4ELb1EL18RadixRankAlgorithm2EcEvPKT4_Pijj,@function
_Z11rank_kernelILj464ELj2ELj4ELb1EL18RadixRankAlgorithm2EcEvPKT4_Pijj: ; @_Z11rank_kernelILj464ELj2ELj4ELb1EL18RadixRankAlgorithm2EcEvPKT4_Pijj
; %bb.0:
	s_load_dwordx4 s[0:3], s[4:5], 0x0
	s_load_dwordx2 s[8:9], s[4:5], 0x10
	s_mulk_i32 s6, 0x3a0
	v_lshlrev_b32_e32 v5, 1, v0
	v_mbcnt_lo_u32_b32 v6, -1, 0
	s_waitcnt lgkmcnt(0)
	s_add_u32 s0, s0, s6
	s_addc_u32 s1, s1, 0
	global_load_ushort v4, v5, s[0:1]
	s_load_dword s4, s[4:5], 0x24
	s_movk_i32 s1, 0x380
	v_mbcnt_hi_u32_b32 v12, -1, v6
	v_and_b32_e32 v13, 0x1c0, v0
	v_add_u32_e32 v7, v12, v13
	v_and_or_b32 v8, v5, s1, v12
	v_lshlrev_b32_e32 v6, 1, v7
	v_bfe_u32 v7, v7, 4, 27
	v_lshrrev_b32_e32 v10, 5, v8
	s_movk_i32 s0, 0x1c0
	v_and_b32_e32 v14, 60, v7
	v_and_b32_e32 v15, 28, v10
	v_cmp_eq_u32_e32 vcc, s0, v13
	v_add_u32_e32 v14, v14, v6
	v_add_u32_e32 v15, v15, v8
	s_waitcnt lgkmcnt(0)
	s_lshr_b32 s0, s4, 16
	v_cndmask_b32_e64 v9, 64, 16, vcc
	v_mad_u32_u24 v18, v2, s0, v1
	v_add_u32_e32 v9, v8, v9
	s_and_b32 s7, s4, 0xffff
	s_and_b32 s1, s9, 31
	v_lshrrev_b32_e32 v11, 5, v9
	s_cmp_eq_u32 s1, 0
	v_and_b32_e32 v16, 60, v11
	s_cselect_b64 s[4:5], -1, 0
	s_and_b32 s0, s8, 31
	v_add_u32_e32 v16, v16, v9
	s_add_i32 s0, s0, s1
	s_sub_i32 s9, 32, s0
	s_sub_i32 s8, 32, s1
	v_mov_b32_e32 v3, 0
	s_waitcnt vmcnt(0)
	ds_write_b16 v14, v4
	; wave barrier
	ds_read_u8 v1, v15
	ds_read_u8 v17, v16
	s_waitcnt lgkmcnt(0)
	s_barrier
	v_xor_b32_e32 v1, 0x80, v1
	v_lshlrev_b32_e32 v1, s9, v1
	v_bfe_u32 v1, v1, s8, 8
	v_xor_b32_e32 v1, 15, v1
	v_cndmask_b32_e64 v19, v1, 15, s[4:5]
	v_and_b32_e32 v1, 1, v19
	v_add_co_u32_e32 v2, vcc, -1, v1
	v_lshlrev_b32_e32 v4, 30, v19
	v_addc_co_u32_e64 v14, s[0:1], 0, -1, vcc
	v_cmp_ne_u32_e32 vcc, 0, v1
	v_cmp_gt_i64_e64 s[0:1], 0, v[3:4]
	v_not_b32_e32 v1, v4
	v_xor_b32_e32 v14, vcc_hi, v14
	v_ashrrev_i32_e32 v1, 31, v1
	v_lshlrev_b32_e32 v4, 29, v19
	v_and_b32_e32 v14, exec_hi, v14
	v_xor_b32_e32 v15, s1, v1
	v_xor_b32_e32 v2, vcc_lo, v2
	v_cmp_gt_i64_e32 vcc, 0, v[3:4]
	v_and_b32_e32 v14, v14, v15
	v_not_b32_e32 v15, v4
	v_lshlrev_b32_e32 v4, 28, v19
	v_and_b32_e32 v2, exec_lo, v2
	v_xor_b32_e32 v1, s0, v1
	v_ashrrev_i32_e32 v15, 31, v15
	v_cmp_gt_i64_e64 s[0:1], 0, v[3:4]
	v_and_b32_e32 v1, v2, v1
	v_xor_b32_e32 v2, vcc_hi, v15
	v_not_b32_e32 v4, v4
	v_and_b32_e32 v2, v14, v2
	v_xor_b32_e32 v14, vcc_lo, v15
	v_ashrrev_i32_e32 v4, 31, v4
	v_and_b32_e32 v1, v1, v14
	v_xor_b32_e32 v14, s1, v4
	v_xor_b32_e32 v4, s0, v4
	v_and_b32_e32 v1, v1, v4
	v_mad_u64_u32 v[15:16], s[0:1], v18, s7, v[0:1]
	v_and_b32_e32 v2, v2, v14
	v_cmp_ne_u64_e32 vcc, 0, v[1:2]
	v_lshrrev_b32_e32 v4, 4, v15
	v_mbcnt_lo_u32_b32 v15, v1, 0
	v_mbcnt_hi_u32_b32 v15, v2, v15
	v_and_b32_e32 v18, 0xffffffc, v4
	v_mul_u32_u24_e32 v4, 36, v19
	v_cmp_eq_u32_e64 s[0:1], 0, v15
	s_mov_b32 s7, 0
	v_lshlrev_b32_e32 v14, 2, v0
	s_and_b64 s[10:11], vcc, s[0:1]
	v_add_u32_e32 v16, v18, v4
	ds_write_b32 v14, v3 offset:32
	s_waitcnt lgkmcnt(0)
	s_barrier
	; wave barrier
	s_and_saveexec_b64 s[0:1], s[10:11]
; %bb.1:
	v_bcnt_u32_b32 v1, v1, 0
	v_bcnt_u32_b32 v1, v2, v1
	ds_write_b32 v16, v1 offset:32
; %bb.2:
	s_or_b64 exec, exec, s[0:1]
	v_xor_b32_e32 v1, 0x80, v17
	v_lshlrev_b32_sdwa v1, s9, v1 dst_sel:DWORD dst_unused:UNUSED_PAD src0_sel:DWORD src1_sel:BYTE_0
	v_lshrrev_b32_e32 v1, s8, v1
	v_mov_b32_e32 v2, 15
	v_xor_b32_sdwa v1, v1, v2 dst_sel:DWORD dst_unused:UNUSED_PAD src0_sel:BYTE_0 src1_sel:DWORD
	v_cndmask_b32_e64 v1, v1, 15, s[4:5]
	v_mad_u32_u24 v2, v1, 36, v18
	; wave barrier
	ds_read_b32 v17, v2 offset:32
	v_and_b32_e32 v2, 1, v1
	v_add_co_u32_e32 v4, vcc, -1, v2
	v_addc_co_u32_e64 v20, s[0:1], 0, -1, vcc
	v_cmp_ne_u32_e32 vcc, 0, v2
	v_xor_b32_e32 v4, vcc_lo, v4
	v_xor_b32_e32 v2, vcc_hi, v20
	v_and_b32_e32 v20, exec_lo, v4
	v_lshlrev_b32_e32 v4, 30, v1
	v_cmp_gt_i64_e32 vcc, 0, v[3:4]
	v_not_b32_e32 v4, v4
	v_ashrrev_i32_e32 v4, 31, v4
	v_xor_b32_e32 v21, vcc_hi, v4
	v_xor_b32_e32 v4, vcc_lo, v4
	v_and_b32_e32 v20, v20, v4
	v_lshlrev_b32_e32 v4, 29, v1
	v_cmp_gt_i64_e32 vcc, 0, v[3:4]
	v_not_b32_e32 v4, v4
	v_and_b32_e32 v2, exec_hi, v2
	v_ashrrev_i32_e32 v4, 31, v4
	v_and_b32_e32 v2, v2, v21
	v_xor_b32_e32 v21, vcc_hi, v4
	v_xor_b32_e32 v4, vcc_lo, v4
	v_and_b32_e32 v20, v20, v4
	v_lshlrev_b32_e32 v4, 28, v1
	v_mul_u32_u24_e32 v19, 36, v1
	v_cmp_gt_i64_e32 vcc, 0, v[3:4]
	v_not_b32_e32 v1, v4
	v_ashrrev_i32_e32 v1, 31, v1
	v_xor_b32_e32 v3, vcc_hi, v1
	v_xor_b32_e32 v1, vcc_lo, v1
	v_and_b32_e32 v2, v2, v21
	v_and_b32_e32 v1, v20, v1
	;; [unrolled: 1-line block ×3, first 2 shown]
	v_mbcnt_lo_u32_b32 v3, v1, 0
	v_mbcnt_hi_u32_b32 v3, v2, v3
	v_cmp_ne_u64_e32 vcc, 0, v[1:2]
	v_cmp_eq_u32_e64 s[0:1], 0, v3
	s_and_b64 s[4:5], vcc, s[0:1]
	v_add_u32_e32 v4, v18, v19
	; wave barrier
	s_and_saveexec_b64 s[0:1], s[4:5]
	s_cbranch_execz .LBB59_4
; %bb.3:
	v_bcnt_u32_b32 v1, v1, 0
	v_bcnt_u32_b32 v1, v2, v1
	s_waitcnt lgkmcnt(0)
	v_add_u32_e32 v1, v17, v1
	ds_write_b32 v4, v1 offset:32
.LBB59_4:
	s_or_b64 exec, exec, s[0:1]
	; wave barrier
	s_waitcnt lgkmcnt(0)
	s_barrier
	ds_read_b32 v1, v14 offset:32
	v_and_b32_e32 v2, 15, v12
	v_cmp_ne_u32_e32 vcc, 0, v2
	v_min_u32_e32 v13, 0x190, v13
	v_add_u32_e32 v13, 63, v13
	s_waitcnt lgkmcnt(0)
	v_mov_b32_dpp v18, v1 row_shr:1 row_mask:0xf bank_mask:0xf
	v_cndmask_b32_e32 v18, 0, v18, vcc
	v_add_u32_e32 v1, v18, v1
	v_cmp_lt_u32_e32 vcc, 1, v2
	s_nop 0
	v_mov_b32_dpp v18, v1 row_shr:2 row_mask:0xf bank_mask:0xf
	v_cndmask_b32_e32 v18, 0, v18, vcc
	v_add_u32_e32 v1, v1, v18
	v_cmp_lt_u32_e32 vcc, 3, v2
	s_nop 0
	;; [unrolled: 5-line block ×3, first 2 shown]
	v_mov_b32_dpp v18, v1 row_shr:8 row_mask:0xf bank_mask:0xf
	v_cndmask_b32_e32 v2, 0, v18, vcc
	v_add_u32_e32 v1, v1, v2
	v_bfe_i32 v18, v12, 4, 1
	v_cmp_lt_u32_e32 vcc, 31, v12
	v_mov_b32_dpp v2, v1 row_bcast:15 row_mask:0xf bank_mask:0xf
	v_and_b32_e32 v2, v18, v2
	v_add_u32_e32 v1, v1, v2
	s_nop 1
	v_mov_b32_dpp v2, v1 row_bcast:31 row_mask:0xf bank_mask:0xf
	v_cndmask_b32_e32 v2, 0, v2, vcc
	v_add_u32_e32 v1, v1, v2
	v_lshrrev_b32_e32 v2, 6, v0
	v_cmp_eq_u32_e32 vcc, v0, v13
	s_and_saveexec_b64 s[0:1], vcc
; %bb.5:
	v_lshlrev_b32_e32 v13, 2, v2
	ds_write_b32 v13, v1
; %bb.6:
	s_or_b64 exec, exec, s[0:1]
	v_cmp_gt_u32_e32 vcc, 8, v0
	s_waitcnt lgkmcnt(0)
	s_barrier
	s_and_saveexec_b64 s[0:1], vcc
	s_cbranch_execz .LBB59_8
; %bb.7:
	ds_read_b32 v13, v14
	v_and_b32_e32 v18, 7, v12
	v_cmp_ne_u32_e32 vcc, 0, v18
	s_waitcnt lgkmcnt(0)
	v_mov_b32_dpp v19, v13 row_shr:1 row_mask:0xf bank_mask:0xf
	v_cndmask_b32_e32 v19, 0, v19, vcc
	v_add_u32_e32 v13, v19, v13
	v_cmp_lt_u32_e32 vcc, 1, v18
	s_nop 0
	v_mov_b32_dpp v19, v13 row_shr:2 row_mask:0xf bank_mask:0xf
	v_cndmask_b32_e32 v19, 0, v19, vcc
	v_add_u32_e32 v13, v13, v19
	v_cmp_lt_u32_e32 vcc, 3, v18
	s_nop 0
	v_mov_b32_dpp v19, v13 row_shr:4 row_mask:0xf bank_mask:0xf
	v_cndmask_b32_e32 v18, 0, v19, vcc
	v_add_u32_e32 v13, v13, v18
	ds_write_b32 v14, v13
.LBB59_8:
	s_or_b64 exec, exec, s[0:1]
	v_cmp_lt_u32_e32 vcc, 63, v0
	v_mov_b32_e32 v0, 0
	s_waitcnt lgkmcnt(0)
	s_barrier
	s_and_saveexec_b64 s[0:1], vcc
; %bb.9:
	v_lshl_add_u32 v0, v2, 2, -4
	ds_read_b32 v0, v0
; %bb.10:
	s_or_b64 exec, exec, s[0:1]
	v_subrev_co_u32_e32 v2, vcc, 1, v12
	v_and_b32_e32 v13, 64, v12
	v_cmp_lt_i32_e64 s[0:1], v2, v13
	v_cndmask_b32_e64 v2, v2, v12, s[0:1]
	s_waitcnt lgkmcnt(0)
	v_add_u32_e32 v1, v0, v1
	v_lshlrev_b32_e32 v2, 2, v2
	ds_bpermute_b32 v1, v2, v1
	v_lshlrev_b32_e32 v2, 2, v8
	v_lshl_add_u32 v2, v10, 2, v2
	s_lshl_b64 s[0:1], s[6:7], 2
	s_add_u32 s0, s2, s0
	s_waitcnt lgkmcnt(0)
	v_cndmask_b32_e32 v0, v1, v0, vcc
	ds_write_b32 v14, v0 offset:32
	s_waitcnt lgkmcnt(0)
	s_barrier
	ds_read_b32 v0, v16 offset:32
	ds_read_b32 v1, v4 offset:32
	s_waitcnt lgkmcnt(0)
	s_barrier
	v_add_u32_e32 v0, v0, v15
	ds_write_b32 v2, v0
	v_lshlrev_b32_e32 v0, 2, v9
	v_add3_u32 v1, v3, v17, v1
	v_lshl_add_u32 v0, v11, 2, v0
	ds_write_b32 v0, v1
	v_add_lshl_u32 v0, v7, v6, 2
	; wave barrier
	ds_read2_b32 v[0:1], v0 offset1:1
	s_addc_u32 s1, s3, s1
	v_lshlrev_b32_e32 v2, 2, v5
	s_waitcnt lgkmcnt(0)
	global_store_dwordx2 v2, v[0:1], s[0:1]
	s_endpgm
	.section	.rodata,"a",@progbits
	.p2align	6, 0x0
	.amdhsa_kernel _Z11rank_kernelILj464ELj2ELj4ELb1EL18RadixRankAlgorithm2EcEvPKT4_Pijj
		.amdhsa_group_segment_fixed_size 3840
		.amdhsa_private_segment_fixed_size 0
		.amdhsa_kernarg_size 280
		.amdhsa_user_sgpr_count 6
		.amdhsa_user_sgpr_private_segment_buffer 1
		.amdhsa_user_sgpr_dispatch_ptr 0
		.amdhsa_user_sgpr_queue_ptr 0
		.amdhsa_user_sgpr_kernarg_segment_ptr 1
		.amdhsa_user_sgpr_dispatch_id 0
		.amdhsa_user_sgpr_flat_scratch_init 0
		.amdhsa_user_sgpr_private_segment_size 0
		.amdhsa_uses_dynamic_stack 0
		.amdhsa_system_sgpr_private_segment_wavefront_offset 0
		.amdhsa_system_sgpr_workgroup_id_x 1
		.amdhsa_system_sgpr_workgroup_id_y 0
		.amdhsa_system_sgpr_workgroup_id_z 0
		.amdhsa_system_sgpr_workgroup_info 0
		.amdhsa_system_vgpr_workitem_id 2
		.amdhsa_next_free_vgpr 22
		.amdhsa_next_free_sgpr 12
		.amdhsa_reserve_vcc 1
		.amdhsa_reserve_flat_scratch 0
		.amdhsa_float_round_mode_32 0
		.amdhsa_float_round_mode_16_64 0
		.amdhsa_float_denorm_mode_32 3
		.amdhsa_float_denorm_mode_16_64 3
		.amdhsa_dx10_clamp 1
		.amdhsa_ieee_mode 1
		.amdhsa_fp16_overflow 0
		.amdhsa_exception_fp_ieee_invalid_op 0
		.amdhsa_exception_fp_denorm_src 0
		.amdhsa_exception_fp_ieee_div_zero 0
		.amdhsa_exception_fp_ieee_overflow 0
		.amdhsa_exception_fp_ieee_underflow 0
		.amdhsa_exception_fp_ieee_inexact 0
		.amdhsa_exception_int_div_zero 0
	.end_amdhsa_kernel
	.section	.text._Z11rank_kernelILj464ELj2ELj4ELb1EL18RadixRankAlgorithm2EcEvPKT4_Pijj,"axG",@progbits,_Z11rank_kernelILj464ELj2ELj4ELb1EL18RadixRankAlgorithm2EcEvPKT4_Pijj,comdat
.Lfunc_end59:
	.size	_Z11rank_kernelILj464ELj2ELj4ELb1EL18RadixRankAlgorithm2EcEvPKT4_Pijj, .Lfunc_end59-_Z11rank_kernelILj464ELj2ELj4ELb1EL18RadixRankAlgorithm2EcEvPKT4_Pijj
                                        ; -- End function
	.set _Z11rank_kernelILj464ELj2ELj4ELb1EL18RadixRankAlgorithm2EcEvPKT4_Pijj.num_vgpr, 22
	.set _Z11rank_kernelILj464ELj2ELj4ELb1EL18RadixRankAlgorithm2EcEvPKT4_Pijj.num_agpr, 0
	.set _Z11rank_kernelILj464ELj2ELj4ELb1EL18RadixRankAlgorithm2EcEvPKT4_Pijj.numbered_sgpr, 12
	.set _Z11rank_kernelILj464ELj2ELj4ELb1EL18RadixRankAlgorithm2EcEvPKT4_Pijj.num_named_barrier, 0
	.set _Z11rank_kernelILj464ELj2ELj4ELb1EL18RadixRankAlgorithm2EcEvPKT4_Pijj.private_seg_size, 0
	.set _Z11rank_kernelILj464ELj2ELj4ELb1EL18RadixRankAlgorithm2EcEvPKT4_Pijj.uses_vcc, 1
	.set _Z11rank_kernelILj464ELj2ELj4ELb1EL18RadixRankAlgorithm2EcEvPKT4_Pijj.uses_flat_scratch, 0
	.set _Z11rank_kernelILj464ELj2ELj4ELb1EL18RadixRankAlgorithm2EcEvPKT4_Pijj.has_dyn_sized_stack, 0
	.set _Z11rank_kernelILj464ELj2ELj4ELb1EL18RadixRankAlgorithm2EcEvPKT4_Pijj.has_recursion, 0
	.set _Z11rank_kernelILj464ELj2ELj4ELb1EL18RadixRankAlgorithm2EcEvPKT4_Pijj.has_indirect_call, 0
	.section	.AMDGPU.csdata,"",@progbits
; Kernel info:
; codeLenInByte = 1360
; TotalNumSgprs: 16
; NumVgprs: 22
; ScratchSize: 0
; MemoryBound: 0
; FloatMode: 240
; IeeeMode: 1
; LDSByteSize: 3840 bytes/workgroup (compile time only)
; SGPRBlocks: 1
; VGPRBlocks: 5
; NumSGPRsForWavesPerEU: 16
; NumVGPRsForWavesPerEU: 22
; Occupancy: 10
; WaveLimiterHint : 0
; COMPUTE_PGM_RSRC2:SCRATCH_EN: 0
; COMPUTE_PGM_RSRC2:USER_SGPR: 6
; COMPUTE_PGM_RSRC2:TRAP_HANDLER: 0
; COMPUTE_PGM_RSRC2:TGID_X_EN: 1
; COMPUTE_PGM_RSRC2:TGID_Y_EN: 0
; COMPUTE_PGM_RSRC2:TGID_Z_EN: 0
; COMPUTE_PGM_RSRC2:TIDIG_COMP_CNT: 2
	.section	.text._Z11rank_kernelILj33ELj5ELj4ELb0EL18RadixRankAlgorithm2EdEvPKT4_Pijj,"axG",@progbits,_Z11rank_kernelILj33ELj5ELj4ELb0EL18RadixRankAlgorithm2EdEvPKT4_Pijj,comdat
	.protected	_Z11rank_kernelILj33ELj5ELj4ELb0EL18RadixRankAlgorithm2EdEvPKT4_Pijj ; -- Begin function _Z11rank_kernelILj33ELj5ELj4ELb0EL18RadixRankAlgorithm2EdEvPKT4_Pijj
	.globl	_Z11rank_kernelILj33ELj5ELj4ELb0EL18RadixRankAlgorithm2EdEvPKT4_Pijj
	.p2align	8
	.type	_Z11rank_kernelILj33ELj5ELj4ELb0EL18RadixRankAlgorithm2EdEvPKT4_Pijj,@function
_Z11rank_kernelILj33ELj5ELj4ELb0EL18RadixRankAlgorithm2EdEvPKT4_Pijj: ; @_Z11rank_kernelILj33ELj5ELj4ELb0EL18RadixRankAlgorithm2EdEvPKT4_Pijj
; %bb.0:
	s_load_dwordx4 s[8:11], s[4:5], 0x0
	s_load_dwordx2 s[12:13], s[4:5], 0x10
	s_mulk_i32 s6, 0xa5
	s_mov_b32 s7, 0
	s_lshl_b64 s[0:1], s[6:7], 3
	s_waitcnt lgkmcnt(0)
	s_add_u32 s0, s8, s0
	v_mul_u32_u24_e32 v14, 5, v0
	s_addc_u32 s1, s9, s1
	v_lshlrev_b32_e32 v7, 3, v14
	global_load_dwordx4 v[3:6], v7, s[0:1]
	global_load_dwordx4 v[10:13], v7, s[0:1] offset:16
	global_load_dwordx2 v[19:20], v7, s[0:1] offset:32
	v_mbcnt_lo_u32_b32 v7, -1, 0
	s_load_dword s5, s[4:5], 0x24
	v_cmp_gt_u32_e32 vcc, 64, v0
	v_mbcnt_hi_u32_b32 v15, -1, v7
	v_cndmask_b32_e64 v16, 64, 33, vcc
	v_mul_u32_u24_e32 v17, 5, v15
	v_lshlrev_b32_e32 v7, 3, v15
	v_lshlrev_b32_e32 v9, 3, v16
	;; [unrolled: 1-line block ×3, first 2 shown]
	v_add_u32_e32 v22, v7, v9
	s_waitcnt lgkmcnt(0)
	s_lshr_b32 s1, s5, 16
	s_and_b32 s4, s13, 63
	s_cmp_lg_u32 s4, 0
	v_mov_b32_e32 v8, 0
	s_mov_b32 s0, -1
	v_lshlrev_b32_e32 v18, 2, v0
	s_cselect_b64 s[2:3], -1, 0
	s_cmp_eq_u32 s4, 0
	s_waitcnt vmcnt(2)
	ds_write2_b64 v21, v[3:4], v[5:6] offset1:1
	v_add_u32_e32 v3, v22, v9
	v_add_u32_e32 v4, v3, v9
	;; [unrolled: 1-line block ×3, first 2 shown]
	v_mul_u32_u24_e32 v9, s1, v2
	s_waitcnt vmcnt(1)
	ds_write2_b64 v21, v[10:11], v[12:13] offset0:2 offset1:3
	s_waitcnt vmcnt(0)
	ds_write_b64 v21, v[19:20] offset:32
	; wave barrier
	ds_read_b64 v[12:13], v7
	ds_read_b64 v[10:11], v22
	;; [unrolled: 1-line block ×5, first 2 shown]
	s_waitcnt lgkmcnt(0)
	; wave barrier
	ds_write_b32 v18, v8 offset:4
	s_waitcnt lgkmcnt(0)
	; wave barrier
	s_cbranch_scc1 .LBB60_2
; %bb.1:
	v_cmp_lt_i64_e32 vcc, -1, v[12:13]
	v_bfrev_b32_e32 v19, 1
	v_cndmask_b32_e32 v20, -1, v19, vcc
	v_ashrrev_i32_e32 v21, 31, v13
	v_xor_b32_e32 v13, v20, v13
	v_xor_b32_e32 v12, v21, v12
	s_brev_b32 s1, -2
	v_cmp_ne_u64_e32 vcc, s[0:1], v[12:13]
	s_and_b32 s0, s12, 63
	s_add_i32 s0, s0, s4
	v_cndmask_b32_e32 v13, v19, v13, vcc
	v_cndmask_b32_e32 v12, 0, v12, vcc
	s_sub_i32 s0, 64, s0
	v_lshlrev_b64 v[12:13], s0, v[12:13]
	s_sub_i32 s0, 64, s4
	v_lshrrev_b64 v[12:13], s0, v[12:13]
	s_branch .LBB60_3
.LBB60_2:
	v_mov_b32_e32 v12, 0
.LBB60_3:
	s_and_b32 s0, s5, 0xffff
	v_add_u32_e32 v1, v9, v1
	v_mad_u32_u24 v1, v1, s0, v0
	v_lshrrev_b32_e32 v1, 6, v1
	v_lshlrev_b32_e32 v22, 2, v1
	v_and_b32_e32 v1, 1, v12
	v_add_co_u32_e32 v9, vcc, -1, v1
	v_addc_co_u32_e64 v13, s[0:1], 0, -1, vcc
	v_cmp_ne_u32_e32 vcc, 0, v1
	v_xor_b32_e32 v9, vcc_lo, v9
	v_xor_b32_e32 v1, vcc_hi, v13
	v_and_b32_e32 v13, exec_lo, v9
	v_lshlrev_b32_e32 v9, 30, v12
	v_cmp_gt_i64_e32 vcc, 0, v[8:9]
	v_not_b32_e32 v9, v9
	v_ashrrev_i32_e32 v9, 31, v9
	v_xor_b32_e32 v20, vcc_hi, v9
	v_xor_b32_e32 v9, vcc_lo, v9
	v_and_b32_e32 v13, v13, v9
	v_lshlrev_b32_e32 v9, 29, v12
	v_cmp_gt_i64_e32 vcc, 0, v[8:9]
	v_not_b32_e32 v9, v9
	v_and_b32_e32 v1, exec_hi, v1
	v_ashrrev_i32_e32 v9, 31, v9
	v_and_b32_e32 v1, v1, v20
	v_xor_b32_e32 v20, vcc_hi, v9
	v_xor_b32_e32 v9, vcc_lo, v9
	v_and_b32_e32 v13, v13, v9
	v_lshlrev_b32_e32 v9, 28, v12
	v_cmp_gt_i64_e32 vcc, 0, v[8:9]
	v_not_b32_e32 v8, v9
	v_ashrrev_i32_e32 v8, 31, v8
	v_xor_b32_e32 v9, vcc_hi, v8
	v_xor_b32_e32 v8, vcc_lo, v8
	v_and_b32_e32 v1, v1, v20
	v_and_b32_e32 v8, v13, v8
	v_and_b32_e32 v9, v1, v9
	v_mbcnt_lo_u32_b32 v1, v8, 0
	v_mbcnt_hi_u32_b32 v20, v9, v1
	v_cmp_ne_u64_e32 vcc, 0, v[8:9]
	v_cmp_eq_u32_e64 s[0:1], 0, v20
	v_lshl_add_u32 v19, v12, 2, v22
	s_and_b64 s[8:9], vcc, s[0:1]
	; wave barrier
	s_and_saveexec_b64 s[0:1], s[8:9]
; %bb.4:
	v_bcnt_u32_b32 v1, v8, 0
	v_bcnt_u32_b32 v1, v9, v1
	ds_write_b32 v19, v1 offset:4
; %bb.5:
	s_or_b64 exec, exec, s[0:1]
	v_cndmask_b32_e64 v1, 0, 1, s[2:3]
	v_mov_b32_e32 v8, 0
	v_cmp_ne_u32_e64 s[0:1], 1, v1
	s_andn2_b64 vcc, exec, s[2:3]
	v_mov_b32_e32 v12, 0
	; wave barrier
	s_cbranch_vccnz .LBB60_7
; %bb.6:
	v_cmp_lt_i64_e32 vcc, -1, v[10:11]
	v_bfrev_b32_e32 v1, 1
	s_mov_b32 s2, -1
	v_cndmask_b32_e32 v9, -1, v1, vcc
	v_ashrrev_i32_e32 v12, 31, v11
	s_brev_b32 s3, -2
	v_xor_b32_e32 v11, v9, v11
	v_xor_b32_e32 v10, v12, v10
	v_cmp_ne_u64_e32 vcc, s[2:3], v[10:11]
	s_and_b32 s2, s12, 63
	s_add_i32 s2, s2, s4
	v_cndmask_b32_e32 v11, v1, v11, vcc
	v_cndmask_b32_e32 v10, 0, v10, vcc
	s_sub_i32 s2, 64, s2
	v_lshlrev_b64 v[9:10], s2, v[10:11]
	s_sub_i32 s2, 64, s4
	v_lshrrev_b64 v[12:13], s2, v[9:10]
.LBB60_7:
	v_and_b32_e32 v1, 1, v12
	v_add_co_u32_e32 v9, vcc, -1, v1
	v_addc_co_u32_e64 v10, s[2:3], 0, -1, vcc
	v_cmp_ne_u32_e32 vcc, 0, v1
	v_xor_b32_e32 v9, vcc_lo, v9
	v_xor_b32_e32 v1, vcc_hi, v10
	v_and_b32_e32 v10, exec_lo, v9
	v_lshlrev_b32_e32 v9, 30, v12
	v_cmp_gt_i64_e32 vcc, 0, v[8:9]
	v_not_b32_e32 v9, v9
	v_ashrrev_i32_e32 v9, 31, v9
	v_xor_b32_e32 v11, vcc_hi, v9
	v_xor_b32_e32 v9, vcc_lo, v9
	v_and_b32_e32 v10, v10, v9
	v_lshlrev_b32_e32 v9, 29, v12
	v_cmp_gt_i64_e32 vcc, 0, v[8:9]
	v_not_b32_e32 v9, v9
	v_and_b32_e32 v1, exec_hi, v1
	v_ashrrev_i32_e32 v9, 31, v9
	v_and_b32_e32 v1, v1, v11
	v_xor_b32_e32 v11, vcc_hi, v9
	v_xor_b32_e32 v9, vcc_lo, v9
	v_and_b32_e32 v10, v10, v9
	v_lshlrev_b32_e32 v9, 28, v12
	v_cmp_gt_i64_e32 vcc, 0, v[8:9]
	v_not_b32_e32 v8, v9
	v_ashrrev_i32_e32 v8, 31, v8
	v_lshl_add_u32 v21, v12, 2, v22
	v_xor_b32_e32 v9, vcc_hi, v8
	v_xor_b32_e32 v8, vcc_lo, v8
	ds_read_b32 v13, v21 offset:4
	v_and_b32_e32 v1, v1, v11
	v_and_b32_e32 v8, v10, v8
	;; [unrolled: 1-line block ×3, first 2 shown]
	v_mbcnt_lo_u32_b32 v1, v8, 0
	v_mbcnt_hi_u32_b32 v12, v9, v1
	v_cmp_ne_u64_e32 vcc, 0, v[8:9]
	v_cmp_eq_u32_e64 s[2:3], 0, v12
	s_and_b64 s[8:9], vcc, s[2:3]
	; wave barrier
	s_and_saveexec_b64 s[2:3], s[8:9]
	s_cbranch_execz .LBB60_9
; %bb.8:
	v_bcnt_u32_b32 v1, v8, 0
	v_bcnt_u32_b32 v1, v9, v1
	s_waitcnt lgkmcnt(0)
	v_add_u32_e32 v1, v13, v1
	ds_write_b32 v21, v1 offset:4
.LBB60_9:
	s_or_b64 exec, exec, s[2:3]
	v_mov_b32_e32 v8, 0
	s_and_b64 vcc, exec, s[0:1]
	v_mov_b32_e32 v10, 0
	; wave barrier
	s_cbranch_vccnz .LBB60_11
; %bb.10:
	v_cmp_lt_i64_e32 vcc, -1, v[6:7]
	v_bfrev_b32_e32 v1, 1
	s_mov_b32 s2, -1
	v_cndmask_b32_e32 v9, -1, v1, vcc
	v_ashrrev_i32_e32 v10, 31, v7
	s_brev_b32 s3, -2
	v_xor_b32_e32 v7, v9, v7
	v_xor_b32_e32 v6, v10, v6
	v_cmp_ne_u64_e32 vcc, s[2:3], v[6:7]
	s_and_b32 s2, s12, 63
	s_add_i32 s2, s2, s4
	v_cndmask_b32_e32 v7, v1, v7, vcc
	v_cndmask_b32_e32 v6, 0, v6, vcc
	s_sub_i32 s2, 64, s2
	v_lshlrev_b64 v[6:7], s2, v[6:7]
	s_sub_i32 s2, 64, s4
	v_lshrrev_b64 v[10:11], s2, v[6:7]
.LBB60_11:
	v_and_b32_e32 v1, 1, v10
	v_add_co_u32_e32 v6, vcc, -1, v1
	v_addc_co_u32_e64 v7, s[2:3], 0, -1, vcc
	v_cmp_ne_u32_e32 vcc, 0, v1
	v_lshlrev_b32_e32 v9, 30, v10
	v_xor_b32_e32 v1, vcc_hi, v7
	v_xor_b32_e32 v6, vcc_lo, v6
	v_cmp_gt_i64_e32 vcc, 0, v[8:9]
	v_not_b32_e32 v7, v9
	v_ashrrev_i32_e32 v7, 31, v7
	v_and_b32_e32 v1, exec_hi, v1
	v_xor_b32_e32 v9, vcc_hi, v7
	v_and_b32_e32 v6, exec_lo, v6
	v_xor_b32_e32 v7, vcc_lo, v7
	v_and_b32_e32 v1, v1, v9
	v_lshlrev_b32_e32 v9, 29, v10
	v_and_b32_e32 v6, v6, v7
	v_cmp_gt_i64_e32 vcc, 0, v[8:9]
	v_not_b32_e32 v7, v9
	v_ashrrev_i32_e32 v7, 31, v7
	v_xor_b32_e32 v9, vcc_hi, v7
	v_xor_b32_e32 v7, vcc_lo, v7
	v_and_b32_e32 v1, v1, v9
	v_lshlrev_b32_e32 v9, 28, v10
	v_and_b32_e32 v6, v6, v7
	v_cmp_gt_i64_e32 vcc, 0, v[8:9]
	v_not_b32_e32 v7, v9
	v_ashrrev_i32_e32 v7, 31, v7
	v_lshl_add_u32 v23, v10, 2, v22
	v_xor_b32_e32 v9, vcc_lo, v7
	ds_read_b32 v11, v23 offset:4
	v_xor_b32_e32 v8, vcc_hi, v7
	v_and_b32_e32 v6, v6, v9
	v_and_b32_e32 v7, v1, v8
	v_mbcnt_lo_u32_b32 v1, v6, 0
	v_mbcnt_hi_u32_b32 v10, v7, v1
	v_cmp_ne_u64_e32 vcc, 0, v[6:7]
	v_cmp_eq_u32_e64 s[2:3], 0, v10
	s_and_b64 s[8:9], vcc, s[2:3]
	; wave barrier
	s_and_saveexec_b64 s[2:3], s[8:9]
	s_cbranch_execz .LBB60_13
; %bb.12:
	v_bcnt_u32_b32 v1, v6, 0
	v_bcnt_u32_b32 v1, v7, v1
	s_waitcnt lgkmcnt(0)
	v_add_u32_e32 v1, v11, v1
	ds_write_b32 v23, v1 offset:4
.LBB60_13:
	s_or_b64 exec, exec, s[2:3]
	v_mov_b32_e32 v6, 0
	s_and_b64 vcc, exec, s[0:1]
	v_mov_b32_e32 v8, 0
	; wave barrier
	s_cbranch_vccnz .LBB60_15
; %bb.14:
	v_cmp_lt_i64_e32 vcc, -1, v[4:5]
	v_bfrev_b32_e32 v1, 1
	s_mov_b32 s2, -1
	v_cndmask_b32_e32 v7, -1, v1, vcc
	v_ashrrev_i32_e32 v8, 31, v5
	s_brev_b32 s3, -2
	v_xor_b32_e32 v5, v7, v5
	v_xor_b32_e32 v4, v8, v4
	v_cmp_ne_u64_e32 vcc, s[2:3], v[4:5]
	s_and_b32 s2, s12, 63
	s_add_i32 s2, s2, s4
	v_cndmask_b32_e32 v5, v1, v5, vcc
	v_cndmask_b32_e32 v4, 0, v4, vcc
	s_sub_i32 s2, 64, s2
	v_lshlrev_b64 v[4:5], s2, v[4:5]
	s_sub_i32 s2, 64, s4
	v_lshrrev_b64 v[8:9], s2, v[4:5]
.LBB60_15:
	v_and_b32_e32 v1, 1, v8
	v_add_co_u32_e32 v4, vcc, -1, v1
	v_addc_co_u32_e64 v5, s[2:3], 0, -1, vcc
	v_cmp_ne_u32_e32 vcc, 0, v1
	v_lshlrev_b32_e32 v7, 30, v8
	v_xor_b32_e32 v1, vcc_hi, v5
	v_xor_b32_e32 v4, vcc_lo, v4
	v_cmp_gt_i64_e32 vcc, 0, v[6:7]
	v_not_b32_e32 v5, v7
	v_ashrrev_i32_e32 v5, 31, v5
	v_and_b32_e32 v1, exec_hi, v1
	v_xor_b32_e32 v7, vcc_hi, v5
	v_and_b32_e32 v4, exec_lo, v4
	v_xor_b32_e32 v5, vcc_lo, v5
	v_and_b32_e32 v1, v1, v7
	v_lshlrev_b32_e32 v7, 29, v8
	v_and_b32_e32 v4, v4, v5
	v_cmp_gt_i64_e32 vcc, 0, v[6:7]
	v_not_b32_e32 v5, v7
	v_ashrrev_i32_e32 v5, 31, v5
	v_xor_b32_e32 v7, vcc_hi, v5
	v_xor_b32_e32 v5, vcc_lo, v5
	v_and_b32_e32 v1, v1, v7
	v_lshlrev_b32_e32 v7, 28, v8
	v_and_b32_e32 v4, v4, v5
	v_cmp_gt_i64_e32 vcc, 0, v[6:7]
	v_not_b32_e32 v5, v7
	v_ashrrev_i32_e32 v5, 31, v5
	v_lshl_add_u32 v24, v8, 2, v22
	v_xor_b32_e32 v7, vcc_lo, v5
	ds_read_b32 v9, v24 offset:4
	v_xor_b32_e32 v6, vcc_hi, v5
	v_and_b32_e32 v4, v4, v7
	v_and_b32_e32 v5, v1, v6
	v_mbcnt_lo_u32_b32 v1, v4, 0
	v_mbcnt_hi_u32_b32 v6, v5, v1
	v_cmp_ne_u64_e32 vcc, 0, v[4:5]
	v_cmp_eq_u32_e64 s[2:3], 0, v6
	s_and_b64 s[8:9], vcc, s[2:3]
	; wave barrier
	s_and_saveexec_b64 s[2:3], s[8:9]
	s_cbranch_execz .LBB60_17
; %bb.16:
	v_bcnt_u32_b32 v1, v4, 0
	v_bcnt_u32_b32 v1, v5, v1
	s_waitcnt lgkmcnt(0)
	v_add_u32_e32 v1, v9, v1
	ds_write_b32 v24, v1 offset:4
.LBB60_17:
	s_or_b64 exec, exec, s[2:3]
	v_mov_b32_e32 v1, 0
	s_and_b64 vcc, exec, s[0:1]
	v_mov_b32_e32 v4, 0
	; wave barrier
	s_cbranch_vccnz .LBB60_19
; %bb.18:
	v_cmp_lt_i64_e32 vcc, -1, v[2:3]
	v_bfrev_b32_e32 v4, 1
	s_mov_b32 s0, -1
	v_cndmask_b32_e32 v5, -1, v4, vcc
	v_ashrrev_i32_e32 v7, 31, v3
	s_brev_b32 s1, -2
	v_xor_b32_e32 v3, v5, v3
	v_xor_b32_e32 v2, v7, v2
	v_cmp_ne_u64_e32 vcc, s[0:1], v[2:3]
	s_and_b32 s0, s12, 63
	s_add_i32 s0, s0, s4
	v_cndmask_b32_e32 v3, v4, v3, vcc
	v_cndmask_b32_e32 v2, 0, v2, vcc
	s_sub_i32 s0, 64, s0
	v_lshlrev_b64 v[2:3], s0, v[2:3]
	s_sub_i32 s0, 64, s4
	v_lshrrev_b64 v[4:5], s0, v[2:3]
.LBB60_19:
	v_and_b32_e32 v2, 1, v4
	v_add_co_u32_e32 v7, vcc, -1, v2
	v_addc_co_u32_e64 v8, s[0:1], 0, -1, vcc
	v_cmp_ne_u32_e32 vcc, 0, v2
	v_xor_b32_e32 v2, vcc_hi, v8
	v_and_b32_e32 v8, exec_hi, v2
	v_lshlrev_b32_e32 v2, 30, v4
	v_xor_b32_e32 v7, vcc_lo, v7
	v_cmp_gt_i64_e32 vcc, 0, v[1:2]
	v_not_b32_e32 v2, v2
	v_ashrrev_i32_e32 v2, 31, v2
	v_lshl_add_u32 v5, v4, 2, v22
	v_and_b32_e32 v7, exec_lo, v7
	v_xor_b32_e32 v22, vcc_hi, v2
	v_xor_b32_e32 v2, vcc_lo, v2
	v_and_b32_e32 v7, v7, v2
	v_lshlrev_b32_e32 v2, 29, v4
	v_cmp_gt_i64_e32 vcc, 0, v[1:2]
	v_not_b32_e32 v2, v2
	v_ashrrev_i32_e32 v2, 31, v2
	v_and_b32_e32 v8, v8, v22
	v_xor_b32_e32 v22, vcc_hi, v2
	v_xor_b32_e32 v2, vcc_lo, v2
	v_and_b32_e32 v7, v7, v2
	v_lshlrev_b32_e32 v2, 28, v4
	v_cmp_gt_i64_e32 vcc, 0, v[1:2]
	v_not_b32_e32 v1, v2
	v_ashrrev_i32_e32 v1, 31, v1
	v_xor_b32_e32 v2, vcc_hi, v1
	v_xor_b32_e32 v1, vcc_lo, v1
	ds_read_b32 v3, v5 offset:4
	v_and_b32_e32 v8, v8, v22
	v_and_b32_e32 v1, v7, v1
	;; [unrolled: 1-line block ×3, first 2 shown]
	v_mbcnt_lo_u32_b32 v4, v1, 0
	v_mbcnt_hi_u32_b32 v4, v2, v4
	v_cmp_ne_u64_e32 vcc, 0, v[1:2]
	v_cmp_eq_u32_e64 s[0:1], 0, v4
	s_and_b64 s[2:3], vcc, s[0:1]
	; wave barrier
	s_and_saveexec_b64 s[0:1], s[2:3]
	s_cbranch_execz .LBB60_21
; %bb.20:
	v_bcnt_u32_b32 v1, v1, 0
	v_bcnt_u32_b32 v1, v2, v1
	s_waitcnt lgkmcnt(0)
	v_add_u32_e32 v1, v3, v1
	ds_write_b32 v5, v1 offset:4
.LBB60_21:
	s_or_b64 exec, exec, s[0:1]
	; wave barrier
	s_waitcnt lgkmcnt(0)
	; wave barrier
	ds_read_b32 v1, v18 offset:4
	v_and_b32_e32 v2, 15, v15
	v_cmp_ne_u32_e32 vcc, 0, v2
	s_waitcnt lgkmcnt(0)
	v_mov_b32_dpp v7, v1 row_shr:1 row_mask:0xf bank_mask:0xf
	v_cndmask_b32_e32 v7, 0, v7, vcc
	v_add_u32_e32 v1, v7, v1
	v_cmp_lt_u32_e32 vcc, 1, v2
	s_nop 0
	v_mov_b32_dpp v7, v1 row_shr:2 row_mask:0xf bank_mask:0xf
	v_cndmask_b32_e32 v7, 0, v7, vcc
	v_add_u32_e32 v1, v1, v7
	v_cmp_lt_u32_e32 vcc, 3, v2
	s_nop 0
	;; [unrolled: 5-line block ×3, first 2 shown]
	v_mov_b32_dpp v7, v1 row_shr:8 row_mask:0xf bank_mask:0xf
	v_cndmask_b32_e32 v2, 0, v7, vcc
	v_add_u32_e32 v1, v1, v2
	v_bfe_i32 v7, v15, 4, 1
	v_cmp_lt_u32_e32 vcc, 31, v15
	v_mov_b32_dpp v2, v1 row_bcast:15 row_mask:0xf bank_mask:0xf
	v_and_b32_e32 v2, v7, v2
	v_add_u32_e32 v1, v1, v2
	s_nop 1
	v_mov_b32_dpp v2, v1 row_bcast:31 row_mask:0xf bank_mask:0xf
	v_cndmask_b32_e32 v2, 0, v2, vcc
	v_add_u32_e32 v1, v1, v2
	v_cmp_eq_u32_e32 vcc, 32, v0
	s_and_saveexec_b64 s[0:1], vcc
; %bb.22:
	v_mov_b32_e32 v0, 0
	ds_write_b32 v0, v1
; %bb.23:
	s_or_b64 exec, exec, s[0:1]
	v_subrev_co_u32_e32 v0, vcc, 1, v15
	v_and_b32_e32 v2, 64, v15
	v_cmp_lt_i32_e64 s[0:1], v0, v2
	v_cndmask_b32_e64 v0, v0, v15, s[0:1]
	v_lshlrev_b32_e32 v0, 2, v0
	ds_bpermute_b32 v0, v0, v1
	s_waitcnt lgkmcnt(0)
	; wave barrier
	s_lshl_b64 s[0:1], s[6:7], 2
	s_add_u32 s0, s10, s0
	v_cndmask_b32_e64 v0, v0, 0, vcc
	ds_write_b32 v18, v0 offset:4
	s_waitcnt lgkmcnt(0)
	; wave barrier
	ds_read_b32 v0, v19 offset:4
	ds_read_b32 v1, v21 offset:4
	ds_read_b32 v2, v23 offset:4
	ds_read_b32 v7, v24 offset:4
	ds_read_b32 v5, v5 offset:4
	s_waitcnt lgkmcnt(4)
	v_add_u32_e32 v0, v0, v20
	s_waitcnt lgkmcnt(0)
	; wave barrier
	v_add3_u32 v1, v12, v13, v1
	v_add3_u32 v3, v4, v3, v5
	v_lshlrev_b32_e32 v4, 2, v15
	ds_write_b32 v4, v0
	v_lshlrev_b32_e32 v0, 2, v16
	v_add_u32_e32 v4, v4, v0
	v_add3_u32 v2, v10, v11, v2
	ds_write_b32 v4, v1
	v_add_u32_e32 v1, v4, v0
	ds_write_b32 v1, v2
	v_add_u32_e32 v1, v1, v0
	v_add3_u32 v6, v6, v9, v7
	v_add_u32_e32 v0, v1, v0
	v_lshlrev_b32_e32 v4, 2, v17
	ds_write_b32 v1, v6
	ds_write_b32 v0, v3
	; wave barrier
	ds_read2_b32 v[0:1], v4 offset1:1
	ds_read2_b32 v[2:3], v4 offset0:2 offset1:3
	ds_read_b32 v4, v4 offset:16
	s_addc_u32 s1, s11, s1
	v_lshlrev_b32_e32 v5, 2, v14
	s_waitcnt lgkmcnt(1)
	global_store_dwordx4 v5, v[0:3], s[0:1]
	s_waitcnt lgkmcnt(0)
	global_store_dword v5, v4, s[0:1] offset:16
	s_endpgm
	.section	.rodata,"a",@progbits
	.p2align	6, 0x0
	.amdhsa_kernel _Z11rank_kernelILj33ELj5ELj4ELb0EL18RadixRankAlgorithm2EdEvPKT4_Pijj
		.amdhsa_group_segment_fixed_size 1328
		.amdhsa_private_segment_fixed_size 0
		.amdhsa_kernarg_size 280
		.amdhsa_user_sgpr_count 6
		.amdhsa_user_sgpr_private_segment_buffer 1
		.amdhsa_user_sgpr_dispatch_ptr 0
		.amdhsa_user_sgpr_queue_ptr 0
		.amdhsa_user_sgpr_kernarg_segment_ptr 1
		.amdhsa_user_sgpr_dispatch_id 0
		.amdhsa_user_sgpr_flat_scratch_init 0
		.amdhsa_user_sgpr_private_segment_size 0
		.amdhsa_uses_dynamic_stack 0
		.amdhsa_system_sgpr_private_segment_wavefront_offset 0
		.amdhsa_system_sgpr_workgroup_id_x 1
		.amdhsa_system_sgpr_workgroup_id_y 0
		.amdhsa_system_sgpr_workgroup_id_z 0
		.amdhsa_system_sgpr_workgroup_info 0
		.amdhsa_system_vgpr_workitem_id 2
		.amdhsa_next_free_vgpr 25
		.amdhsa_next_free_sgpr 14
		.amdhsa_reserve_vcc 1
		.amdhsa_reserve_flat_scratch 0
		.amdhsa_float_round_mode_32 0
		.amdhsa_float_round_mode_16_64 0
		.amdhsa_float_denorm_mode_32 3
		.amdhsa_float_denorm_mode_16_64 3
		.amdhsa_dx10_clamp 1
		.amdhsa_ieee_mode 1
		.amdhsa_fp16_overflow 0
		.amdhsa_exception_fp_ieee_invalid_op 0
		.amdhsa_exception_fp_denorm_src 0
		.amdhsa_exception_fp_ieee_div_zero 0
		.amdhsa_exception_fp_ieee_overflow 0
		.amdhsa_exception_fp_ieee_underflow 0
		.amdhsa_exception_fp_ieee_inexact 0
		.amdhsa_exception_int_div_zero 0
	.end_amdhsa_kernel
	.section	.text._Z11rank_kernelILj33ELj5ELj4ELb0EL18RadixRankAlgorithm2EdEvPKT4_Pijj,"axG",@progbits,_Z11rank_kernelILj33ELj5ELj4ELb0EL18RadixRankAlgorithm2EdEvPKT4_Pijj,comdat
.Lfunc_end60:
	.size	_Z11rank_kernelILj33ELj5ELj4ELb0EL18RadixRankAlgorithm2EdEvPKT4_Pijj, .Lfunc_end60-_Z11rank_kernelILj33ELj5ELj4ELb0EL18RadixRankAlgorithm2EdEvPKT4_Pijj
                                        ; -- End function
	.set _Z11rank_kernelILj33ELj5ELj4ELb0EL18RadixRankAlgorithm2EdEvPKT4_Pijj.num_vgpr, 25
	.set _Z11rank_kernelILj33ELj5ELj4ELb0EL18RadixRankAlgorithm2EdEvPKT4_Pijj.num_agpr, 0
	.set _Z11rank_kernelILj33ELj5ELj4ELb0EL18RadixRankAlgorithm2EdEvPKT4_Pijj.numbered_sgpr, 14
	.set _Z11rank_kernelILj33ELj5ELj4ELb0EL18RadixRankAlgorithm2EdEvPKT4_Pijj.num_named_barrier, 0
	.set _Z11rank_kernelILj33ELj5ELj4ELb0EL18RadixRankAlgorithm2EdEvPKT4_Pijj.private_seg_size, 0
	.set _Z11rank_kernelILj33ELj5ELj4ELb0EL18RadixRankAlgorithm2EdEvPKT4_Pijj.uses_vcc, 1
	.set _Z11rank_kernelILj33ELj5ELj4ELb0EL18RadixRankAlgorithm2EdEvPKT4_Pijj.uses_flat_scratch, 0
	.set _Z11rank_kernelILj33ELj5ELj4ELb0EL18RadixRankAlgorithm2EdEvPKT4_Pijj.has_dyn_sized_stack, 0
	.set _Z11rank_kernelILj33ELj5ELj4ELb0EL18RadixRankAlgorithm2EdEvPKT4_Pijj.has_recursion, 0
	.set _Z11rank_kernelILj33ELj5ELj4ELb0EL18RadixRankAlgorithm2EdEvPKT4_Pijj.has_indirect_call, 0
	.section	.AMDGPU.csdata,"",@progbits
; Kernel info:
; codeLenInByte = 2332
; TotalNumSgprs: 18
; NumVgprs: 25
; ScratchSize: 0
; MemoryBound: 0
; FloatMode: 240
; IeeeMode: 1
; LDSByteSize: 1328 bytes/workgroup (compile time only)
; SGPRBlocks: 2
; VGPRBlocks: 6
; NumSGPRsForWavesPerEU: 18
; NumVGPRsForWavesPerEU: 25
; Occupancy: 9
; WaveLimiterHint : 0
; COMPUTE_PGM_RSRC2:SCRATCH_EN: 0
; COMPUTE_PGM_RSRC2:USER_SGPR: 6
; COMPUTE_PGM_RSRC2:TRAP_HANDLER: 0
; COMPUTE_PGM_RSRC2:TGID_X_EN: 1
; COMPUTE_PGM_RSRC2:TGID_Y_EN: 0
; COMPUTE_PGM_RSRC2:TGID_Z_EN: 0
; COMPUTE_PGM_RSRC2:TIDIG_COMP_CNT: 2
	.section	.text._Z11rank_kernelILj512ELj2ELj4ELb0EL18RadixRankAlgorithm2EfEvPKT4_Pijj,"axG",@progbits,_Z11rank_kernelILj512ELj2ELj4ELb0EL18RadixRankAlgorithm2EfEvPKT4_Pijj,comdat
	.protected	_Z11rank_kernelILj512ELj2ELj4ELb0EL18RadixRankAlgorithm2EfEvPKT4_Pijj ; -- Begin function _Z11rank_kernelILj512ELj2ELj4ELb0EL18RadixRankAlgorithm2EfEvPKT4_Pijj
	.globl	_Z11rank_kernelILj512ELj2ELj4ELb0EL18RadixRankAlgorithm2EfEvPKT4_Pijj
	.p2align	8
	.type	_Z11rank_kernelILj512ELj2ELj4ELb0EL18RadixRankAlgorithm2EfEvPKT4_Pijj,@function
_Z11rank_kernelILj512ELj2ELj4ELb0EL18RadixRankAlgorithm2EfEvPKT4_Pijj: ; @_Z11rank_kernelILj512ELj2ELj4ELb0EL18RadixRankAlgorithm2EfEvPKT4_Pijj
; %bb.0:
	s_load_dwordx4 s[0:3], s[4:5], 0x0
	s_load_dwordx2 s[10:11], s[4:5], 0x10
	s_lshl_b32 s6, s6, 10
	s_mov_b32 s7, 0
	s_lshl_b64 s[6:7], s[6:7], 2
	s_waitcnt lgkmcnt(0)
	s_add_u32 s0, s0, s6
	s_addc_u32 s1, s1, s7
	v_lshlrev_b32_e32 v3, 3, v0
	global_load_dwordx2 v[12:13], v3, s[0:1]
	s_load_dword s1, s[4:5], 0x24
	v_mbcnt_lo_u32_b32 v4, -1, 0
	s_movk_i32 s0, 0x380
	v_lshlrev_b32_e32 v5, 1, v0
	v_mbcnt_hi_u32_b32 v10, -1, v4
	v_and_or_b32 v6, v5, s0, v10
	s_waitcnt lgkmcnt(0)
	s_lshr_b32 s0, s1, 16
	s_and_b32 s1, s1, 0xffff
	v_mad_u32_u24 v1, v2, s0, v1
	v_and_b32_e32 v11, 0x1c0, v0
	v_mad_u64_u32 v[1:2], s[0:1], v1, s1, v[0:1]
	v_add_u32_e32 v4, v10, v11
	v_lshlrev_b32_e32 v7, 1, v4
	v_bfe_u32 v4, v4, 4, 27
	v_lshrrev_b32_e32 v8, 3, v6
	v_add_u32_e32 v16, 64, v6
	v_lshlrev_b32_e32 v15, 2, v6
	v_add_lshl_u32 v6, v4, v7, 2
	v_and_b32_e32 v4, 0x7c, v8
	v_lshrrev_b32_e32 v8, 3, v16
	v_add_u32_e32 v7, v4, v15
	v_and_b32_e32 v4, 0xfc, v8
	v_lshrrev_b32_e32 v1, 4, v1
	v_add_u32_e32 v8, v4, v15
	v_and_b32_e32 v15, 0xffffffc, v1
	v_bfrev_b32_e32 v14, 1
	s_and_b32 s11, s11, 31
	s_cmp_eq_u32 s11, 0
	s_brev_b32 s8, -2
	s_cselect_b64 s[4:5], -1, 0
	s_and_b32 s0, s10, 31
	s_add_i32 s0, s0, s11
	s_sub_i32 s10, 32, s0
	s_sub_i32 s9, 32, s11
	v_mov_b32_e32 v3, 0
	v_lshlrev_b32_e32 v9, 2, v0
	s_waitcnt vmcnt(0)
	ds_write2_b32 v6, v12, v13 offset1:1
	; wave barrier
	ds_read_b32 v1, v7
	ds_read_b32 v16, v8 offset:256
	s_waitcnt lgkmcnt(0)
	s_barrier
	v_cmp_lt_i32_e32 vcc, -1, v1
	v_cndmask_b32_e32 v2, -1, v14, vcc
	v_xor_b32_e32 v1, v2, v1
	v_cmp_ne_u32_e32 vcc, s8, v1
	v_cndmask_b32_e32 v1, v14, v1, vcc
	v_lshlrev_b32_e32 v1, s10, v1
	v_lshrrev_b32_e32 v1, s9, v1
	v_cndmask_b32_e64 v1, v1, 0, s[4:5]
	v_and_b32_e32 v2, 1, v1
	v_add_co_u32_e32 v12, vcc, -1, v2
	v_lshlrev_b32_e32 v4, 30, v1
	v_addc_co_u32_e64 v17, s[0:1], 0, -1, vcc
	v_cmp_ne_u32_e32 vcc, 0, v2
	v_cmp_gt_i64_e64 s[0:1], 0, v[3:4]
	v_not_b32_e32 v2, v4
	v_lshlrev_b32_e32 v4, 29, v1
	v_xor_b32_e32 v17, vcc_hi, v17
	v_xor_b32_e32 v12, vcc_lo, v12
	v_ashrrev_i32_e32 v2, 31, v2
	v_cmp_gt_i64_e32 vcc, 0, v[3:4]
	v_not_b32_e32 v18, v4
	v_lshlrev_b32_e32 v4, 28, v1
	v_mul_lo_u32 v13, v1, 36
	v_and_b32_e32 v1, exec_hi, v17
	v_and_b32_e32 v12, exec_lo, v12
	v_xor_b32_e32 v17, s1, v2
	v_xor_b32_e32 v2, s0, v2
	v_ashrrev_i32_e32 v18, 31, v18
	v_cmp_gt_i64_e64 s[0:1], 0, v[3:4]
	v_not_b32_e32 v4, v4
	v_and_b32_e32 v1, v1, v17
	v_and_b32_e32 v2, v12, v2
	v_xor_b32_e32 v12, vcc_hi, v18
	v_xor_b32_e32 v17, vcc_lo, v18
	v_ashrrev_i32_e32 v4, 31, v4
	v_and_b32_e32 v1, v1, v12
	v_and_b32_e32 v12, v2, v17
	v_xor_b32_e32 v2, s1, v4
	v_xor_b32_e32 v4, s0, v4
	v_and_b32_e32 v2, v1, v2
	v_and_b32_e32 v1, v12, v4
	v_mbcnt_lo_u32_b32 v4, v1, 0
	v_mbcnt_hi_u32_b32 v12, v2, v4
	v_cmp_ne_u64_e32 vcc, 0, v[1:2]
	v_cmp_eq_u32_e64 s[0:1], 0, v12
	s_and_b64 s[12:13], vcc, s[0:1]
	v_add_u32_e32 v13, v15, v13
	ds_write_b32 v9, v3 offset:32
	s_waitcnt lgkmcnt(0)
	s_barrier
	; wave barrier
	s_and_saveexec_b64 s[0:1], s[12:13]
; %bb.1:
	v_bcnt_u32_b32 v1, v1, 0
	v_bcnt_u32_b32 v1, v2, v1
	ds_write_b32 v13, v1 offset:32
; %bb.2:
	s_or_b64 exec, exec, s[0:1]
	v_cmp_lt_i32_e32 vcc, -1, v16
	v_cndmask_b32_e32 v1, -1, v14, vcc
	v_xor_b32_e32 v1, v1, v16
	v_cmp_ne_u32_e32 vcc, s8, v1
	v_cndmask_b32_e32 v1, v14, v1, vcc
	v_lshlrev_b32_e32 v1, s10, v1
	v_lshrrev_b32_e32 v1, s9, v1
	v_cndmask_b32_e64 v1, v1, 0, s[4:5]
	v_mul_lo_u32 v2, v1, 36
	; wave barrier
	v_add_u32_e32 v15, v15, v2
	v_and_b32_e32 v2, 1, v1
	v_add_co_u32_e32 v4, vcc, -1, v2
	v_addc_co_u32_e64 v16, s[0:1], 0, -1, vcc
	v_cmp_ne_u32_e32 vcc, 0, v2
	v_xor_b32_e32 v4, vcc_lo, v4
	v_xor_b32_e32 v2, vcc_hi, v16
	v_and_b32_e32 v16, exec_lo, v4
	v_lshlrev_b32_e32 v4, 30, v1
	v_cmp_gt_i64_e32 vcc, 0, v[3:4]
	v_not_b32_e32 v4, v4
	v_ashrrev_i32_e32 v4, 31, v4
	v_xor_b32_e32 v17, vcc_hi, v4
	v_xor_b32_e32 v4, vcc_lo, v4
	v_and_b32_e32 v16, v16, v4
	v_lshlrev_b32_e32 v4, 29, v1
	v_cmp_gt_i64_e32 vcc, 0, v[3:4]
	v_not_b32_e32 v4, v4
	v_and_b32_e32 v2, exec_hi, v2
	v_ashrrev_i32_e32 v4, 31, v4
	v_and_b32_e32 v2, v2, v17
	v_xor_b32_e32 v17, vcc_hi, v4
	v_xor_b32_e32 v4, vcc_lo, v4
	v_and_b32_e32 v16, v16, v4
	v_lshlrev_b32_e32 v4, 28, v1
	v_cmp_gt_i64_e32 vcc, 0, v[3:4]
	v_not_b32_e32 v1, v4
	v_ashrrev_i32_e32 v1, 31, v1
	v_xor_b32_e32 v3, vcc_hi, v1
	v_xor_b32_e32 v1, vcc_lo, v1
	ds_read_b32 v14, v15 offset:32
	v_and_b32_e32 v2, v2, v17
	v_and_b32_e32 v1, v16, v1
	;; [unrolled: 1-line block ×3, first 2 shown]
	v_mbcnt_lo_u32_b32 v3, v1, 0
	v_mbcnt_hi_u32_b32 v3, v2, v3
	v_cmp_ne_u64_e32 vcc, 0, v[1:2]
	v_cmp_eq_u32_e64 s[0:1], 0, v3
	s_and_b64 s[4:5], vcc, s[0:1]
	; wave barrier
	s_and_saveexec_b64 s[0:1], s[4:5]
	s_cbranch_execz .LBB61_4
; %bb.3:
	v_bcnt_u32_b32 v1, v1, 0
	v_bcnt_u32_b32 v1, v2, v1
	s_waitcnt lgkmcnt(0)
	v_add_u32_e32 v1, v14, v1
	ds_write_b32 v15, v1 offset:32
.LBB61_4:
	s_or_b64 exec, exec, s[0:1]
	; wave barrier
	s_waitcnt lgkmcnt(0)
	s_barrier
	ds_read_b32 v1, v9 offset:32
	v_and_b32_e32 v2, 15, v10
	v_cmp_ne_u32_e32 vcc, 0, v2
	s_waitcnt lgkmcnt(0)
	v_mov_b32_dpp v4, v1 row_shr:1 row_mask:0xf bank_mask:0xf
	v_cndmask_b32_e32 v4, 0, v4, vcc
	v_add_u32_e32 v1, v4, v1
	v_cmp_lt_u32_e32 vcc, 1, v2
	s_nop 0
	v_mov_b32_dpp v4, v1 row_shr:2 row_mask:0xf bank_mask:0xf
	v_cndmask_b32_e32 v4, 0, v4, vcc
	v_add_u32_e32 v1, v1, v4
	v_cmp_lt_u32_e32 vcc, 3, v2
	s_nop 0
	v_mov_b32_dpp v4, v1 row_shr:4 row_mask:0xf bank_mask:0xf
	v_cndmask_b32_e32 v4, 0, v4, vcc
	v_add_u32_e32 v1, v1, v4
	v_cmp_lt_u32_e32 vcc, 7, v2
	s_nop 0
	v_mov_b32_dpp v4, v1 row_shr:8 row_mask:0xf bank_mask:0xf
	v_cndmask_b32_e32 v2, 0, v4, vcc
	v_add_u32_e32 v1, v1, v2
	v_bfe_i32 v4, v10, 4, 1
	v_cmp_lt_u32_e32 vcc, 31, v10
	v_mov_b32_dpp v2, v1 row_bcast:15 row_mask:0xf bank_mask:0xf
	v_and_b32_e32 v2, v4, v2
	v_add_u32_e32 v1, v1, v2
	v_min_u32_e32 v4, 0x1c0, v11
	v_or_b32_e32 v4, 63, v4
	v_mov_b32_dpp v2, v1 row_bcast:31 row_mask:0xf bank_mask:0xf
	v_cndmask_b32_e32 v2, 0, v2, vcc
	v_add_u32_e32 v1, v1, v2
	v_lshrrev_b32_e32 v2, 6, v0
	v_cmp_eq_u32_e32 vcc, v0, v4
	s_and_saveexec_b64 s[0:1], vcc
; %bb.5:
	v_lshlrev_b32_e32 v4, 2, v2
	ds_write_b32 v4, v1
; %bb.6:
	s_or_b64 exec, exec, s[0:1]
	v_cmp_gt_u32_e32 vcc, 8, v0
	s_waitcnt lgkmcnt(0)
	s_barrier
	s_and_saveexec_b64 s[0:1], vcc
	s_cbranch_execz .LBB61_8
; %bb.7:
	ds_read_b32 v4, v9
	v_and_b32_e32 v11, 7, v10
	v_cmp_ne_u32_e32 vcc, 0, v11
	s_waitcnt lgkmcnt(0)
	v_mov_b32_dpp v16, v4 row_shr:1 row_mask:0xf bank_mask:0xf
	v_cndmask_b32_e32 v16, 0, v16, vcc
	v_add_u32_e32 v4, v16, v4
	v_cmp_lt_u32_e32 vcc, 1, v11
	s_nop 0
	v_mov_b32_dpp v16, v4 row_shr:2 row_mask:0xf bank_mask:0xf
	v_cndmask_b32_e32 v16, 0, v16, vcc
	v_add_u32_e32 v4, v4, v16
	v_cmp_lt_u32_e32 vcc, 3, v11
	s_nop 0
	v_mov_b32_dpp v16, v4 row_shr:4 row_mask:0xf bank_mask:0xf
	v_cndmask_b32_e32 v11, 0, v16, vcc
	v_add_u32_e32 v4, v4, v11
	ds_write_b32 v9, v4
.LBB61_8:
	s_or_b64 exec, exec, s[0:1]
	v_cmp_lt_u32_e32 vcc, 63, v0
	v_mov_b32_e32 v0, 0
	s_waitcnt lgkmcnt(0)
	s_barrier
	s_and_saveexec_b64 s[0:1], vcc
; %bb.9:
	v_lshl_add_u32 v0, v2, 2, -4
	ds_read_b32 v0, v0
; %bb.10:
	s_or_b64 exec, exec, s[0:1]
	v_subrev_co_u32_e32 v2, vcc, 1, v10
	v_and_b32_e32 v4, 64, v10
	v_cmp_lt_i32_e64 s[0:1], v2, v4
	v_cndmask_b32_e64 v2, v2, v10, s[0:1]
	s_waitcnt lgkmcnt(0)
	v_add_u32_e32 v1, v0, v1
	v_lshlrev_b32_e32 v2, 2, v2
	ds_bpermute_b32 v1, v2, v1
	s_add_u32 s0, s2, s6
	s_addc_u32 s1, s3, s7
	v_lshlrev_b32_e32 v2, 2, v5
	s_waitcnt lgkmcnt(0)
	v_cndmask_b32_e32 v0, v1, v0, vcc
	ds_write_b32 v9, v0 offset:32
	s_waitcnt lgkmcnt(0)
	s_barrier
	ds_read_b32 v0, v13 offset:32
	ds_read_b32 v1, v15 offset:32
	s_waitcnt lgkmcnt(0)
	s_barrier
	v_add_u32_e32 v0, v0, v12
	v_add3_u32 v1, v3, v14, v1
	ds_write_b32 v7, v0
	ds_write_b32 v8, v1 offset:256
	; wave barrier
	ds_read2_b32 v[0:1], v6 offset1:1
	s_waitcnt lgkmcnt(0)
	global_store_dwordx2 v2, v[0:1], s[0:1]
	s_endpgm
	.section	.rodata,"a",@progbits
	.p2align	6, 0x0
	.amdhsa_kernel _Z11rank_kernelILj512ELj2ELj4ELb0EL18RadixRankAlgorithm2EfEvPKT4_Pijj
		.amdhsa_group_segment_fixed_size 4224
		.amdhsa_private_segment_fixed_size 0
		.amdhsa_kernarg_size 280
		.amdhsa_user_sgpr_count 6
		.amdhsa_user_sgpr_private_segment_buffer 1
		.amdhsa_user_sgpr_dispatch_ptr 0
		.amdhsa_user_sgpr_queue_ptr 0
		.amdhsa_user_sgpr_kernarg_segment_ptr 1
		.amdhsa_user_sgpr_dispatch_id 0
		.amdhsa_user_sgpr_flat_scratch_init 0
		.amdhsa_user_sgpr_private_segment_size 0
		.amdhsa_uses_dynamic_stack 0
		.amdhsa_system_sgpr_private_segment_wavefront_offset 0
		.amdhsa_system_sgpr_workgroup_id_x 1
		.amdhsa_system_sgpr_workgroup_id_y 0
		.amdhsa_system_sgpr_workgroup_id_z 0
		.amdhsa_system_sgpr_workgroup_info 0
		.amdhsa_system_vgpr_workitem_id 2
		.amdhsa_next_free_vgpr 19
		.amdhsa_next_free_sgpr 14
		.amdhsa_reserve_vcc 1
		.amdhsa_reserve_flat_scratch 0
		.amdhsa_float_round_mode_32 0
		.amdhsa_float_round_mode_16_64 0
		.amdhsa_float_denorm_mode_32 3
		.amdhsa_float_denorm_mode_16_64 3
		.amdhsa_dx10_clamp 1
		.amdhsa_ieee_mode 1
		.amdhsa_fp16_overflow 0
		.amdhsa_exception_fp_ieee_invalid_op 0
		.amdhsa_exception_fp_denorm_src 0
		.amdhsa_exception_fp_ieee_div_zero 0
		.amdhsa_exception_fp_ieee_overflow 0
		.amdhsa_exception_fp_ieee_underflow 0
		.amdhsa_exception_fp_ieee_inexact 0
		.amdhsa_exception_int_div_zero 0
	.end_amdhsa_kernel
	.section	.text._Z11rank_kernelILj512ELj2ELj4ELb0EL18RadixRankAlgorithm2EfEvPKT4_Pijj,"axG",@progbits,_Z11rank_kernelILj512ELj2ELj4ELb0EL18RadixRankAlgorithm2EfEvPKT4_Pijj,comdat
.Lfunc_end61:
	.size	_Z11rank_kernelILj512ELj2ELj4ELb0EL18RadixRankAlgorithm2EfEvPKT4_Pijj, .Lfunc_end61-_Z11rank_kernelILj512ELj2ELj4ELb0EL18RadixRankAlgorithm2EfEvPKT4_Pijj
                                        ; -- End function
	.set _Z11rank_kernelILj512ELj2ELj4ELb0EL18RadixRankAlgorithm2EfEvPKT4_Pijj.num_vgpr, 19
	.set _Z11rank_kernelILj512ELj2ELj4ELb0EL18RadixRankAlgorithm2EfEvPKT4_Pijj.num_agpr, 0
	.set _Z11rank_kernelILj512ELj2ELj4ELb0EL18RadixRankAlgorithm2EfEvPKT4_Pijj.numbered_sgpr, 14
	.set _Z11rank_kernelILj512ELj2ELj4ELb0EL18RadixRankAlgorithm2EfEvPKT4_Pijj.num_named_barrier, 0
	.set _Z11rank_kernelILj512ELj2ELj4ELb0EL18RadixRankAlgorithm2EfEvPKT4_Pijj.private_seg_size, 0
	.set _Z11rank_kernelILj512ELj2ELj4ELb0EL18RadixRankAlgorithm2EfEvPKT4_Pijj.uses_vcc, 1
	.set _Z11rank_kernelILj512ELj2ELj4ELb0EL18RadixRankAlgorithm2EfEvPKT4_Pijj.uses_flat_scratch, 0
	.set _Z11rank_kernelILj512ELj2ELj4ELb0EL18RadixRankAlgorithm2EfEvPKT4_Pijj.has_dyn_sized_stack, 0
	.set _Z11rank_kernelILj512ELj2ELj4ELb0EL18RadixRankAlgorithm2EfEvPKT4_Pijj.has_recursion, 0
	.set _Z11rank_kernelILj512ELj2ELj4ELb0EL18RadixRankAlgorithm2EfEvPKT4_Pijj.has_indirect_call, 0
	.section	.AMDGPU.csdata,"",@progbits
; Kernel info:
; codeLenInByte = 1332
; TotalNumSgprs: 18
; NumVgprs: 19
; ScratchSize: 0
; MemoryBound: 0
; FloatMode: 240
; IeeeMode: 1
; LDSByteSize: 4224 bytes/workgroup (compile time only)
; SGPRBlocks: 2
; VGPRBlocks: 4
; NumSGPRsForWavesPerEU: 18
; NumVGPRsForWavesPerEU: 19
; Occupancy: 10
; WaveLimiterHint : 0
; COMPUTE_PGM_RSRC2:SCRATCH_EN: 0
; COMPUTE_PGM_RSRC2:USER_SGPR: 6
; COMPUTE_PGM_RSRC2:TRAP_HANDLER: 0
; COMPUTE_PGM_RSRC2:TGID_X_EN: 1
; COMPUTE_PGM_RSRC2:TGID_Y_EN: 0
; COMPUTE_PGM_RSRC2:TGID_Z_EN: 0
; COMPUTE_PGM_RSRC2:TIDIG_COMP_CNT: 2
	.section	.text._Z11rank_kernelILj256ELj7ELj4ELb0EL18RadixRankAlgorithm2EtEvPKT4_Pijj,"axG",@progbits,_Z11rank_kernelILj256ELj7ELj4ELb0EL18RadixRankAlgorithm2EtEvPKT4_Pijj,comdat
	.protected	_Z11rank_kernelILj256ELj7ELj4ELb0EL18RadixRankAlgorithm2EtEvPKT4_Pijj ; -- Begin function _Z11rank_kernelILj256ELj7ELj4ELb0EL18RadixRankAlgorithm2EtEvPKT4_Pijj
	.globl	_Z11rank_kernelILj256ELj7ELj4ELb0EL18RadixRankAlgorithm2EtEvPKT4_Pijj
	.p2align	8
	.type	_Z11rank_kernelILj256ELj7ELj4ELb0EL18RadixRankAlgorithm2EtEvPKT4_Pijj,@function
_Z11rank_kernelILj256ELj7ELj4ELb0EL18RadixRankAlgorithm2EtEvPKT4_Pijj: ; @_Z11rank_kernelILj256ELj7ELj4ELb0EL18RadixRankAlgorithm2EtEvPKT4_Pijj
; %bb.0:
	s_load_dwordx4 s[0:3], s[4:5], 0x0
	s_load_dwordx2 s[8:9], s[4:5], 0x10
	s_mulk_i32 s6, 0x700
	s_mov_b32 s7, 0
	s_lshl_b64 s[10:11], s[6:7], 1
	s_waitcnt lgkmcnt(0)
	s_add_u32 s0, s0, s10
	v_mul_u32_u24_e32 v5, 7, v0
	s_addc_u32 s1, s1, s11
	v_lshlrev_b32_e32 v3, 1, v5
	global_load_dwordx3 v[14:16], v3, s[0:1]
	global_load_ushort v4, v3, s[0:1] offset:12
	s_load_dword s1, s[4:5], 0x24
	v_mbcnt_lo_u32_b32 v6, -1, 0
	s_movk_i32 s0, 0x1c0
	v_mbcnt_hi_u32_b32 v7, -1, v6
	v_lshrrev_b32_e32 v9, 6, v0
	v_mad_u32_u24 v8, v9, s0, v7
	s_waitcnt lgkmcnt(0)
	s_lshr_b32 s0, s1, 16
	s_and_b32 s1, s1, 0xffff
	v_mad_u32_u24 v1, v2, s0, v1
	v_mad_u64_u32 v[1:2], s[0:1], v1, s1, v[0:1]
	s_and_b32 s9, s9, 31
	v_mul_u32_u24_e32 v6, 0x1c0, v9
	s_cmp_eq_u32 s9, 0
	v_mad_u32_u24 v6, v7, 7, v6
	s_cselect_b64 s[4:5], -1, 0
	s_and_b32 s0, s8, 31
	v_lshlrev_b32_e32 v11, 1, v8
	v_lshlrev_b32_e32 v12, 1, v6
	s_add_i32 s0, s0, s9
	v_lshrrev_b32_e32 v1, 4, v1
	s_sub_i32 s8, 32, s9
	s_sub_i32 s9, 32, s0
	v_and_b32_e32 v13, 0xffffffc, v1
	v_mov_b32_e32 v3, 0
	v_lshlrev_b32_e32 v10, 2, v0
	s_waitcnt vmcnt(1)
	ds_write_b96 v12, v[14:16]
	s_waitcnt vmcnt(0)
	ds_write_b16 v12, v4 offset:12
	; wave barrier
	ds_read_u16 v1, v11
	ds_read_u16 v14, v11 offset:128
	ds_read_u16 v17, v11 offset:256
	;; [unrolled: 1-line block ×6, first 2 shown]
	s_waitcnt lgkmcnt(6)
	v_lshlrev_b32_e32 v1, s9, v1
	v_bfe_u32 v1, v1, s8, 16
	v_cndmask_b32_e64 v1, v1, 0, s[4:5]
	v_and_b32_e32 v2, 1, v1
	v_add_co_u32_e32 v11, vcc, -1, v2
	v_lshlrev_b32_e32 v4, 30, v1
	v_addc_co_u32_e64 v15, s[0:1], 0, -1, vcc
	v_cmp_ne_u32_e32 vcc, 0, v2
	v_cmp_gt_i64_e64 s[0:1], 0, v[3:4]
	v_not_b32_e32 v2, v4
	v_lshlrev_b32_e32 v4, 29, v1
	v_xor_b32_e32 v15, vcc_hi, v15
	v_xor_b32_e32 v11, vcc_lo, v11
	v_ashrrev_i32_e32 v2, 31, v2
	v_cmp_gt_i64_e32 vcc, 0, v[3:4]
	v_not_b32_e32 v18, v4
	v_lshlrev_b32_e32 v4, 28, v1
	v_mul_u32_u24_e32 v12, 20, v1
	v_and_b32_e32 v1, exec_hi, v15
	v_and_b32_e32 v11, exec_lo, v11
	v_xor_b32_e32 v15, s1, v2
	v_xor_b32_e32 v2, s0, v2
	v_ashrrev_i32_e32 v18, 31, v18
	v_cmp_gt_i64_e64 s[0:1], 0, v[3:4]
	v_not_b32_e32 v4, v4
	v_and_b32_e32 v1, v1, v15
	v_and_b32_e32 v2, v11, v2
	v_xor_b32_e32 v11, vcc_hi, v18
	v_xor_b32_e32 v15, vcc_lo, v18
	v_ashrrev_i32_e32 v4, 31, v4
	v_and_b32_e32 v1, v1, v11
	v_and_b32_e32 v11, v2, v15
	v_xor_b32_e32 v2, s1, v4
	v_xor_b32_e32 v4, s0, v4
	v_and_b32_e32 v2, v1, v2
	v_and_b32_e32 v1, v11, v4
	v_mbcnt_lo_u32_b32 v4, v1, 0
	v_cmp_ne_u64_e32 vcc, 0, v[1:2]
	v_mbcnt_hi_u32_b32 v11, v2, v4
	v_cmp_eq_u32_e64 s[0:1], 0, v11
	s_and_b64 s[10:11], vcc, s[0:1]
	v_add_u32_e32 v12, v13, v12
	s_waitcnt lgkmcnt(0)
	s_barrier
	ds_write_b32 v10, v3 offset:16
	s_waitcnt lgkmcnt(0)
	s_barrier
	; wave barrier
	s_and_saveexec_b64 s[0:1], s[10:11]
; %bb.1:
	v_bcnt_u32_b32 v1, v1, 0
	v_bcnt_u32_b32 v1, v2, v1
	ds_write_b32 v12, v1 offset:16
; %bb.2:
	s_or_b64 exec, exec, s[0:1]
	v_lshlrev_b32_sdwa v1, s9, v14 dst_sel:DWORD dst_unused:UNUSED_PAD src0_sel:DWORD src1_sel:WORD_0
	v_lshrrev_b32_e32 v1, s8, v1
	v_and_b32_e32 v1, 0xffff, v1
	v_cndmask_b32_e64 v1, v1, 0, s[4:5]
	v_mad_u32_u24 v2, v1, 20, v13
	; wave barrier
	ds_read_b32 v14, v2 offset:16
	v_and_b32_e32 v2, 1, v1
	v_add_co_u32_e32 v4, vcc, -1, v2
	v_addc_co_u32_e64 v18, s[0:1], 0, -1, vcc
	v_cmp_ne_u32_e32 vcc, 0, v2
	v_xor_b32_e32 v4, vcc_lo, v4
	v_xor_b32_e32 v2, vcc_hi, v18
	v_and_b32_e32 v18, exec_lo, v4
	v_lshlrev_b32_e32 v4, 30, v1
	v_cmp_gt_i64_e32 vcc, 0, v[3:4]
	v_not_b32_e32 v4, v4
	v_ashrrev_i32_e32 v4, 31, v4
	v_xor_b32_e32 v19, vcc_hi, v4
	v_xor_b32_e32 v4, vcc_lo, v4
	v_and_b32_e32 v18, v18, v4
	v_lshlrev_b32_e32 v4, 29, v1
	v_cmp_gt_i64_e32 vcc, 0, v[3:4]
	v_not_b32_e32 v4, v4
	v_and_b32_e32 v2, exec_hi, v2
	v_ashrrev_i32_e32 v4, 31, v4
	v_and_b32_e32 v2, v2, v19
	v_xor_b32_e32 v19, vcc_hi, v4
	v_xor_b32_e32 v4, vcc_lo, v4
	v_and_b32_e32 v18, v18, v4
	v_lshlrev_b32_e32 v4, 28, v1
	v_mul_u32_u24_e32 v15, 20, v1
	v_cmp_gt_i64_e32 vcc, 0, v[3:4]
	v_not_b32_e32 v1, v4
	v_ashrrev_i32_e32 v1, 31, v1
	v_xor_b32_e32 v3, vcc_hi, v1
	v_xor_b32_e32 v1, vcc_lo, v1
	v_and_b32_e32 v2, v2, v19
	v_and_b32_e32 v1, v18, v1
	;; [unrolled: 1-line block ×3, first 2 shown]
	v_mbcnt_lo_u32_b32 v3, v1, 0
	v_mbcnt_hi_u32_b32 v4, v2, v3
	v_cmp_ne_u64_e32 vcc, 0, v[1:2]
	v_cmp_eq_u32_e64 s[0:1], 0, v4
	s_and_b64 s[10:11], vcc, s[0:1]
	v_add_u32_e32 v15, v13, v15
	; wave barrier
	s_and_saveexec_b64 s[0:1], s[10:11]
	s_cbranch_execz .LBB62_4
; %bb.3:
	v_bcnt_u32_b32 v1, v1, 0
	v_bcnt_u32_b32 v1, v2, v1
	s_waitcnt lgkmcnt(0)
	v_add_u32_e32 v1, v14, v1
	ds_write_b32 v15, v1 offset:16
.LBB62_4:
	s_or_b64 exec, exec, s[0:1]
	v_lshlrev_b32_sdwa v1, s9, v17 dst_sel:DWORD dst_unused:UNUSED_PAD src0_sel:DWORD src1_sel:WORD_0
	v_lshrrev_b32_e32 v1, s8, v1
	v_and_b32_e32 v1, 0xffff, v1
	v_cndmask_b32_e64 v3, v1, 0, s[4:5]
	v_and_b32_e32 v2, 1, v3
	v_add_co_u32_e32 v18, vcc, -1, v2
	v_addc_co_u32_e64 v22, s[0:1], 0, -1, vcc
	v_cmp_ne_u32_e32 vcc, 0, v2
	v_mad_u32_u24 v1, v3, 20, v13
	v_xor_b32_e32 v2, vcc_hi, v22
	; wave barrier
	ds_read_b32 v17, v1 offset:16
	v_mov_b32_e32 v1, 0
	v_and_b32_e32 v22, exec_hi, v2
	v_lshlrev_b32_e32 v2, 30, v3
	v_xor_b32_e32 v18, vcc_lo, v18
	v_cmp_gt_i64_e32 vcc, 0, v[1:2]
	v_not_b32_e32 v2, v2
	v_ashrrev_i32_e32 v2, 31, v2
	v_and_b32_e32 v18, exec_lo, v18
	v_xor_b32_e32 v23, vcc_hi, v2
	v_xor_b32_e32 v2, vcc_lo, v2
	v_and_b32_e32 v18, v18, v2
	v_lshlrev_b32_e32 v2, 29, v3
	v_cmp_gt_i64_e32 vcc, 0, v[1:2]
	v_not_b32_e32 v2, v2
	v_ashrrev_i32_e32 v2, 31, v2
	v_and_b32_e32 v22, v22, v23
	v_xor_b32_e32 v23, vcc_hi, v2
	v_xor_b32_e32 v2, vcc_lo, v2
	v_and_b32_e32 v18, v18, v2
	v_lshlrev_b32_e32 v2, 28, v3
	v_cmp_gt_i64_e32 vcc, 0, v[1:2]
	v_not_b32_e32 v2, v2
	v_ashrrev_i32_e32 v2, 31, v2
	v_mul_u32_u24_e32 v19, 20, v3
	v_xor_b32_e32 v3, vcc_hi, v2
	v_xor_b32_e32 v2, vcc_lo, v2
	v_and_b32_e32 v22, v22, v23
	v_and_b32_e32 v2, v18, v2
	;; [unrolled: 1-line block ×3, first 2 shown]
	v_mbcnt_lo_u32_b32 v18, v2, 0
	v_mbcnt_hi_u32_b32 v18, v3, v18
	v_cmp_ne_u64_e32 vcc, 0, v[2:3]
	v_cmp_eq_u32_e64 s[0:1], 0, v18
	s_and_b64 s[10:11], vcc, s[0:1]
	v_add_u32_e32 v19, v13, v19
	; wave barrier
	s_and_saveexec_b64 s[0:1], s[10:11]
	s_cbranch_execz .LBB62_6
; %bb.5:
	v_bcnt_u32_b32 v2, v2, 0
	v_bcnt_u32_b32 v2, v3, v2
	s_waitcnt lgkmcnt(0)
	v_add_u32_e32 v2, v17, v2
	ds_write_b32 v19, v2 offset:16
.LBB62_6:
	s_or_b64 exec, exec, s[0:1]
	v_lshlrev_b32_sdwa v2, s9, v21 dst_sel:DWORD dst_unused:UNUSED_PAD src0_sel:DWORD src1_sel:WORD_0
	v_lshrrev_b32_e32 v2, s8, v2
	v_and_b32_e32 v2, 0xffff, v2
	v_cndmask_b32_e64 v3, v2, 0, s[4:5]
	v_mad_u32_u24 v2, v3, 20, v13
	; wave barrier
	ds_read_b32 v21, v2 offset:16
	v_and_b32_e32 v2, 1, v3
	v_add_co_u32_e32 v22, vcc, -1, v2
	v_addc_co_u32_e64 v25, s[0:1], 0, -1, vcc
	v_cmp_ne_u32_e32 vcc, 0, v2
	v_xor_b32_e32 v2, vcc_hi, v25
	v_and_b32_e32 v25, exec_hi, v2
	v_lshlrev_b32_e32 v2, 30, v3
	v_xor_b32_e32 v22, vcc_lo, v22
	v_cmp_gt_i64_e32 vcc, 0, v[1:2]
	v_not_b32_e32 v2, v2
	v_ashrrev_i32_e32 v2, 31, v2
	v_and_b32_e32 v22, exec_lo, v22
	v_xor_b32_e32 v26, vcc_hi, v2
	v_xor_b32_e32 v2, vcc_lo, v2
	v_and_b32_e32 v22, v22, v2
	v_lshlrev_b32_e32 v2, 29, v3
	v_cmp_gt_i64_e32 vcc, 0, v[1:2]
	v_not_b32_e32 v2, v2
	v_ashrrev_i32_e32 v2, 31, v2
	v_and_b32_e32 v25, v25, v26
	v_xor_b32_e32 v26, vcc_hi, v2
	v_xor_b32_e32 v2, vcc_lo, v2
	v_and_b32_e32 v22, v22, v2
	v_lshlrev_b32_e32 v2, 28, v3
	v_cmp_gt_i64_e32 vcc, 0, v[1:2]
	v_not_b32_e32 v1, v2
	v_ashrrev_i32_e32 v1, 31, v1
	v_xor_b32_e32 v2, vcc_hi, v1
	v_xor_b32_e32 v1, vcc_lo, v1
	v_and_b32_e32 v25, v25, v26
	v_and_b32_e32 v1, v22, v1
	v_mul_u32_u24_e32 v23, 20, v3
	v_and_b32_e32 v2, v25, v2
	v_mbcnt_lo_u32_b32 v3, v1, 0
	v_mbcnt_hi_u32_b32 v22, v2, v3
	v_cmp_ne_u64_e32 vcc, 0, v[1:2]
	v_cmp_eq_u32_e64 s[0:1], 0, v22
	s_and_b64 s[10:11], vcc, s[0:1]
	v_add_u32_e32 v23, v13, v23
	; wave barrier
	s_and_saveexec_b64 s[0:1], s[10:11]
	s_cbranch_execz .LBB62_8
; %bb.7:
	v_bcnt_u32_b32 v1, v1, 0
	v_bcnt_u32_b32 v1, v2, v1
	s_waitcnt lgkmcnt(0)
	v_add_u32_e32 v1, v21, v1
	ds_write_b32 v23, v1 offset:16
.LBB62_8:
	s_or_b64 exec, exec, s[0:1]
	v_lshlrev_b32_sdwa v1, s9, v24 dst_sel:DWORD dst_unused:UNUSED_PAD src0_sel:DWORD src1_sel:WORD_0
	v_lshrrev_b32_e32 v1, s8, v1
	v_and_b32_e32 v1, 0xffff, v1
	v_cndmask_b32_e64 v3, v1, 0, s[4:5]
	v_and_b32_e32 v2, 1, v3
	v_add_co_u32_e32 v25, vcc, -1, v2
	v_addc_co_u32_e64 v27, s[0:1], 0, -1, vcc
	v_cmp_ne_u32_e32 vcc, 0, v2
	v_mad_u32_u24 v1, v3, 20, v13
	v_xor_b32_e32 v2, vcc_hi, v27
	; wave barrier
	ds_read_b32 v24, v1 offset:16
	v_mov_b32_e32 v1, 0
	v_and_b32_e32 v27, exec_hi, v2
	v_lshlrev_b32_e32 v2, 30, v3
	v_xor_b32_e32 v25, vcc_lo, v25
	v_cmp_gt_i64_e32 vcc, 0, v[1:2]
	v_not_b32_e32 v2, v2
	v_ashrrev_i32_e32 v2, 31, v2
	v_and_b32_e32 v25, exec_lo, v25
	v_xor_b32_e32 v28, vcc_hi, v2
	v_xor_b32_e32 v2, vcc_lo, v2
	v_and_b32_e32 v25, v25, v2
	v_lshlrev_b32_e32 v2, 29, v3
	v_cmp_gt_i64_e32 vcc, 0, v[1:2]
	v_not_b32_e32 v2, v2
	v_ashrrev_i32_e32 v2, 31, v2
	v_and_b32_e32 v27, v27, v28
	v_xor_b32_e32 v28, vcc_hi, v2
	v_xor_b32_e32 v2, vcc_lo, v2
	v_and_b32_e32 v25, v25, v2
	v_lshlrev_b32_e32 v2, 28, v3
	v_cmp_gt_i64_e32 vcc, 0, v[1:2]
	v_not_b32_e32 v2, v2
	v_ashrrev_i32_e32 v2, 31, v2
	v_mul_u32_u24_e32 v26, 20, v3
	v_xor_b32_e32 v3, vcc_hi, v2
	v_xor_b32_e32 v2, vcc_lo, v2
	v_and_b32_e32 v27, v27, v28
	v_and_b32_e32 v2, v25, v2
	;; [unrolled: 1-line block ×3, first 2 shown]
	v_mbcnt_lo_u32_b32 v25, v2, 0
	v_mbcnt_hi_u32_b32 v25, v3, v25
	v_cmp_ne_u64_e32 vcc, 0, v[2:3]
	v_cmp_eq_u32_e64 s[0:1], 0, v25
	s_and_b64 s[10:11], vcc, s[0:1]
	v_add_u32_e32 v26, v13, v26
	; wave barrier
	s_and_saveexec_b64 s[0:1], s[10:11]
	s_cbranch_execz .LBB62_10
; %bb.9:
	v_bcnt_u32_b32 v2, v2, 0
	v_bcnt_u32_b32 v2, v3, v2
	s_waitcnt lgkmcnt(0)
	v_add_u32_e32 v2, v24, v2
	ds_write_b32 v26, v2 offset:16
.LBB62_10:
	s_or_b64 exec, exec, s[0:1]
	v_lshlrev_b32_sdwa v2, s9, v20 dst_sel:DWORD dst_unused:UNUSED_PAD src0_sel:DWORD src1_sel:WORD_0
	v_lshrrev_b32_e32 v2, s8, v2
	v_and_b32_e32 v2, 0xffff, v2
	v_cndmask_b32_e64 v20, v2, 0, s[4:5]
	v_mad_u32_u24 v2, v20, 20, v13
	; wave barrier
	ds_read_b32 v3, v2 offset:16
	v_and_b32_e32 v2, 1, v20
	v_add_co_u32_e32 v28, vcc, -1, v2
	v_addc_co_u32_e64 v29, s[0:1], 0, -1, vcc
	v_cmp_ne_u32_e32 vcc, 0, v2
	v_xor_b32_e32 v2, vcc_hi, v29
	v_and_b32_e32 v29, exec_hi, v2
	v_lshlrev_b32_e32 v2, 30, v20
	v_xor_b32_e32 v28, vcc_lo, v28
	v_cmp_gt_i64_e32 vcc, 0, v[1:2]
	v_not_b32_e32 v2, v2
	v_ashrrev_i32_e32 v2, 31, v2
	v_and_b32_e32 v28, exec_lo, v28
	v_xor_b32_e32 v30, vcc_hi, v2
	v_xor_b32_e32 v2, vcc_lo, v2
	v_and_b32_e32 v28, v28, v2
	v_lshlrev_b32_e32 v2, 29, v20
	v_cmp_gt_i64_e32 vcc, 0, v[1:2]
	v_not_b32_e32 v2, v2
	v_ashrrev_i32_e32 v2, 31, v2
	v_and_b32_e32 v29, v29, v30
	v_xor_b32_e32 v30, vcc_hi, v2
	v_xor_b32_e32 v2, vcc_lo, v2
	v_and_b32_e32 v28, v28, v2
	v_lshlrev_b32_e32 v2, 28, v20
	v_cmp_gt_i64_e32 vcc, 0, v[1:2]
	v_not_b32_e32 v1, v2
	v_ashrrev_i32_e32 v1, 31, v1
	v_xor_b32_e32 v2, vcc_hi, v1
	v_xor_b32_e32 v1, vcc_lo, v1
	v_and_b32_e32 v29, v29, v30
	v_and_b32_e32 v1, v28, v1
	v_mul_u32_u24_e32 v27, 20, v20
	v_and_b32_e32 v2, v29, v2
	v_mbcnt_lo_u32_b32 v20, v1, 0
	v_mbcnt_hi_u32_b32 v20, v2, v20
	v_cmp_ne_u64_e32 vcc, 0, v[1:2]
	v_cmp_eq_u32_e64 s[0:1], 0, v20
	s_and_b64 s[10:11], vcc, s[0:1]
	v_add_u32_e32 v27, v13, v27
	; wave barrier
	s_and_saveexec_b64 s[0:1], s[10:11]
	s_cbranch_execz .LBB62_12
; %bb.11:
	v_bcnt_u32_b32 v1, v1, 0
	v_bcnt_u32_b32 v1, v2, v1
	s_waitcnt lgkmcnt(0)
	v_add_u32_e32 v1, v3, v1
	ds_write_b32 v27, v1 offset:16
.LBB62_12:
	s_or_b64 exec, exec, s[0:1]
	v_lshlrev_b32_sdwa v1, s9, v16 dst_sel:DWORD dst_unused:UNUSED_PAD src0_sel:DWORD src1_sel:WORD_0
	v_lshrrev_b32_e32 v1, s8, v1
	v_and_b32_e32 v1, 0xffff, v1
	v_cndmask_b32_e64 v28, v1, 0, s[4:5]
	v_and_b32_e32 v2, 1, v28
	v_add_co_u32_e32 v30, vcc, -1, v2
	v_addc_co_u32_e64 v31, s[0:1], 0, -1, vcc
	v_cmp_ne_u32_e32 vcc, 0, v2
	v_mad_u32_u24 v1, v28, 20, v13
	v_xor_b32_e32 v2, vcc_hi, v31
	; wave barrier
	ds_read_b32 v16, v1 offset:16
	v_mov_b32_e32 v1, 0
	v_and_b32_e32 v31, exec_hi, v2
	v_lshlrev_b32_e32 v2, 30, v28
	v_xor_b32_e32 v30, vcc_lo, v30
	v_cmp_gt_i64_e32 vcc, 0, v[1:2]
	v_not_b32_e32 v2, v2
	v_ashrrev_i32_e32 v2, 31, v2
	v_and_b32_e32 v30, exec_lo, v30
	v_xor_b32_e32 v32, vcc_hi, v2
	v_xor_b32_e32 v2, vcc_lo, v2
	v_and_b32_e32 v30, v30, v2
	v_lshlrev_b32_e32 v2, 29, v28
	v_cmp_gt_i64_e32 vcc, 0, v[1:2]
	v_not_b32_e32 v2, v2
	v_ashrrev_i32_e32 v2, 31, v2
	v_and_b32_e32 v31, v31, v32
	v_xor_b32_e32 v32, vcc_hi, v2
	v_xor_b32_e32 v2, vcc_lo, v2
	v_and_b32_e32 v30, v30, v2
	v_lshlrev_b32_e32 v2, 28, v28
	v_cmp_gt_i64_e32 vcc, 0, v[1:2]
	v_not_b32_e32 v1, v2
	v_ashrrev_i32_e32 v1, 31, v1
	v_xor_b32_e32 v2, vcc_hi, v1
	v_xor_b32_e32 v1, vcc_lo, v1
	v_and_b32_e32 v31, v31, v32
	v_and_b32_e32 v1, v30, v1
	v_mul_u32_u24_e32 v29, 20, v28
	v_and_b32_e32 v2, v31, v2
	v_mbcnt_lo_u32_b32 v28, v1, 0
	v_mbcnt_hi_u32_b32 v28, v2, v28
	v_cmp_ne_u64_e32 vcc, 0, v[1:2]
	v_cmp_eq_u32_e64 s[0:1], 0, v28
	s_and_b64 s[4:5], vcc, s[0:1]
	v_add_u32_e32 v13, v13, v29
	; wave barrier
	s_and_saveexec_b64 s[0:1], s[4:5]
	s_cbranch_execz .LBB62_14
; %bb.13:
	v_bcnt_u32_b32 v1, v1, 0
	v_bcnt_u32_b32 v1, v2, v1
	s_waitcnt lgkmcnt(0)
	v_add_u32_e32 v1, v16, v1
	ds_write_b32 v13, v1 offset:16
.LBB62_14:
	s_or_b64 exec, exec, s[0:1]
	; wave barrier
	s_waitcnt lgkmcnt(0)
	s_barrier
	ds_read_b32 v1, v10 offset:16
	v_and_b32_e32 v2, 15, v7
	v_cmp_ne_u32_e32 vcc, 0, v2
	s_waitcnt lgkmcnt(0)
	v_mov_b32_dpp v29, v1 row_shr:1 row_mask:0xf bank_mask:0xf
	v_cndmask_b32_e32 v29, 0, v29, vcc
	v_add_u32_e32 v1, v29, v1
	v_cmp_lt_u32_e32 vcc, 1, v2
	s_nop 0
	v_mov_b32_dpp v29, v1 row_shr:2 row_mask:0xf bank_mask:0xf
	v_cndmask_b32_e32 v29, 0, v29, vcc
	v_add_u32_e32 v1, v1, v29
	v_cmp_lt_u32_e32 vcc, 3, v2
	s_nop 0
	;; [unrolled: 5-line block ×3, first 2 shown]
	v_mov_b32_dpp v29, v1 row_shr:8 row_mask:0xf bank_mask:0xf
	v_cndmask_b32_e32 v2, 0, v29, vcc
	v_add_u32_e32 v1, v1, v2
	v_bfe_i32 v29, v7, 4, 1
	v_cmp_lt_u32_e32 vcc, 31, v7
	v_mov_b32_dpp v2, v1 row_bcast:15 row_mask:0xf bank_mask:0xf
	v_and_b32_e32 v2, v29, v2
	v_add_u32_e32 v1, v1, v2
	s_nop 1
	v_mov_b32_dpp v2, v1 row_bcast:31 row_mask:0xf bank_mask:0xf
	v_cndmask_b32_e32 v2, 0, v2, vcc
	v_add_u32_e32 v1, v1, v2
	v_or_b32_e32 v2, 63, v0
	v_cmp_eq_u32_e32 vcc, v0, v2
	s_and_saveexec_b64 s[0:1], vcc
; %bb.15:
	v_lshlrev_b32_e32 v2, 2, v9
	ds_write_b32 v2, v1
; %bb.16:
	s_or_b64 exec, exec, s[0:1]
	v_cmp_gt_u32_e32 vcc, 4, v0
	s_waitcnt lgkmcnt(0)
	s_barrier
	s_and_saveexec_b64 s[0:1], vcc
	s_cbranch_execz .LBB62_18
; %bb.17:
	ds_read_b32 v2, v10
	v_and_b32_e32 v29, 3, v7
	v_cmp_ne_u32_e32 vcc, 0, v29
	s_waitcnt lgkmcnt(0)
	v_mov_b32_dpp v30, v2 row_shr:1 row_mask:0xf bank_mask:0xf
	v_cndmask_b32_e32 v30, 0, v30, vcc
	v_add_u32_e32 v2, v30, v2
	v_cmp_lt_u32_e32 vcc, 1, v29
	s_nop 0
	v_mov_b32_dpp v30, v2 row_shr:2 row_mask:0xf bank_mask:0xf
	v_cndmask_b32_e32 v29, 0, v30, vcc
	v_add_u32_e32 v2, v2, v29
	ds_write_b32 v10, v2
.LBB62_18:
	s_or_b64 exec, exec, s[0:1]
	v_cmp_lt_u32_e32 vcc, 63, v0
	v_mov_b32_e32 v0, 0
	s_waitcnt lgkmcnt(0)
	s_barrier
	s_and_saveexec_b64 s[0:1], vcc
; %bb.19:
	v_lshl_add_u32 v0, v9, 2, -4
	ds_read_b32 v0, v0
; %bb.20:
	s_or_b64 exec, exec, s[0:1]
	v_subrev_co_u32_e32 v2, vcc, 1, v7
	v_and_b32_e32 v9, 64, v7
	v_cmp_lt_i32_e64 s[0:1], v2, v9
	v_cndmask_b32_e64 v2, v2, v7, s[0:1]
	s_waitcnt lgkmcnt(0)
	v_add_u32_e32 v1, v0, v1
	v_lshlrev_b32_e32 v2, 2, v2
	ds_bpermute_b32 v1, v2, v1
	v_lshlrev_b32_e32 v8, 2, v8
	s_lshl_b64 s[0:1], s[6:7], 2
	s_add_u32 s0, s2, s0
	s_addc_u32 s1, s3, s1
	s_waitcnt lgkmcnt(0)
	v_cndmask_b32_e32 v0, v1, v0, vcc
	ds_write_b32 v10, v0 offset:16
	s_waitcnt lgkmcnt(0)
	s_barrier
	ds_read_b32 v0, v12 offset:16
	ds_read_b32 v1, v15 offset:16
	;; [unrolled: 1-line block ×3, first 2 shown]
	s_waitcnt lgkmcnt(2)
	v_add_u32_e32 v0, v0, v11
	s_waitcnt lgkmcnt(1)
	v_add3_u32 v1, v4, v14, v1
	ds_read_b32 v4, v23 offset:16
	ds_read_b32 v7, v26 offset:16
	;; [unrolled: 1-line block ×4, first 2 shown]
	s_waitcnt lgkmcnt(4)
	v_add3_u32 v2, v18, v17, v2
	s_waitcnt lgkmcnt(3)
	v_add3_u32 v4, v22, v21, v4
	;; [unrolled: 2-line block ×5, first 2 shown]
	s_barrier
	ds_write2st64_b32 v8, v0, v1 offset1:1
	ds_write2st64_b32 v8, v2, v4 offset0:2 offset1:3
	ds_write2st64_b32 v8, v7, v3 offset0:4 offset1:5
	ds_write_b32 v8, v9 offset:1536
	v_lshlrev_b32_e32 v4, 2, v6
	; wave barrier
	ds_read2_b32 v[0:1], v4 offset1:1
	ds_read2_b32 v[2:3], v4 offset0:2 offset1:3
	ds_read2_b32 v[6:7], v4 offset0:4 offset1:5
	ds_read_b32 v8, v4 offset:24
	v_lshlrev_b32_e32 v4, 2, v5
	s_waitcnt lgkmcnt(2)
	global_store_dwordx4 v4, v[0:3], s[0:1]
	s_waitcnt lgkmcnt(0)
	global_store_dwordx3 v4, v[6:8], s[0:1] offset:16
	s_endpgm
	.section	.rodata,"a",@progbits
	.p2align	6, 0x0
	.amdhsa_kernel _Z11rank_kernelILj256ELj7ELj4ELb0EL18RadixRankAlgorithm2EtEvPKT4_Pijj
		.amdhsa_group_segment_fixed_size 7168
		.amdhsa_private_segment_fixed_size 0
		.amdhsa_kernarg_size 280
		.amdhsa_user_sgpr_count 6
		.amdhsa_user_sgpr_private_segment_buffer 1
		.amdhsa_user_sgpr_dispatch_ptr 0
		.amdhsa_user_sgpr_queue_ptr 0
		.amdhsa_user_sgpr_kernarg_segment_ptr 1
		.amdhsa_user_sgpr_dispatch_id 0
		.amdhsa_user_sgpr_flat_scratch_init 0
		.amdhsa_user_sgpr_private_segment_size 0
		.amdhsa_uses_dynamic_stack 0
		.amdhsa_system_sgpr_private_segment_wavefront_offset 0
		.amdhsa_system_sgpr_workgroup_id_x 1
		.amdhsa_system_sgpr_workgroup_id_y 0
		.amdhsa_system_sgpr_workgroup_id_z 0
		.amdhsa_system_sgpr_workgroup_info 0
		.amdhsa_system_vgpr_workitem_id 2
		.amdhsa_next_free_vgpr 33
		.amdhsa_next_free_sgpr 61
		.amdhsa_reserve_vcc 1
		.amdhsa_reserve_flat_scratch 0
		.amdhsa_float_round_mode_32 0
		.amdhsa_float_round_mode_16_64 0
		.amdhsa_float_denorm_mode_32 3
		.amdhsa_float_denorm_mode_16_64 3
		.amdhsa_dx10_clamp 1
		.amdhsa_ieee_mode 1
		.amdhsa_fp16_overflow 0
		.amdhsa_exception_fp_ieee_invalid_op 0
		.amdhsa_exception_fp_denorm_src 0
		.amdhsa_exception_fp_ieee_div_zero 0
		.amdhsa_exception_fp_ieee_overflow 0
		.amdhsa_exception_fp_ieee_underflow 0
		.amdhsa_exception_fp_ieee_inexact 0
		.amdhsa_exception_int_div_zero 0
	.end_amdhsa_kernel
	.section	.text._Z11rank_kernelILj256ELj7ELj4ELb0EL18RadixRankAlgorithm2EtEvPKT4_Pijj,"axG",@progbits,_Z11rank_kernelILj256ELj7ELj4ELb0EL18RadixRankAlgorithm2EtEvPKT4_Pijj,comdat
.Lfunc_end62:
	.size	_Z11rank_kernelILj256ELj7ELj4ELb0EL18RadixRankAlgorithm2EtEvPKT4_Pijj, .Lfunc_end62-_Z11rank_kernelILj256ELj7ELj4ELb0EL18RadixRankAlgorithm2EtEvPKT4_Pijj
                                        ; -- End function
	.set _Z11rank_kernelILj256ELj7ELj4ELb0EL18RadixRankAlgorithm2EtEvPKT4_Pijj.num_vgpr, 33
	.set _Z11rank_kernelILj256ELj7ELj4ELb0EL18RadixRankAlgorithm2EtEvPKT4_Pijj.num_agpr, 0
	.set _Z11rank_kernelILj256ELj7ELj4ELb0EL18RadixRankAlgorithm2EtEvPKT4_Pijj.numbered_sgpr, 12
	.set _Z11rank_kernelILj256ELj7ELj4ELb0EL18RadixRankAlgorithm2EtEvPKT4_Pijj.num_named_barrier, 0
	.set _Z11rank_kernelILj256ELj7ELj4ELb0EL18RadixRankAlgorithm2EtEvPKT4_Pijj.private_seg_size, 0
	.set _Z11rank_kernelILj256ELj7ELj4ELb0EL18RadixRankAlgorithm2EtEvPKT4_Pijj.uses_vcc, 1
	.set _Z11rank_kernelILj256ELj7ELj4ELb0EL18RadixRankAlgorithm2EtEvPKT4_Pijj.uses_flat_scratch, 0
	.set _Z11rank_kernelILj256ELj7ELj4ELb0EL18RadixRankAlgorithm2EtEvPKT4_Pijj.has_dyn_sized_stack, 0
	.set _Z11rank_kernelILj256ELj7ELj4ELb0EL18RadixRankAlgorithm2EtEvPKT4_Pijj.has_recursion, 0
	.set _Z11rank_kernelILj256ELj7ELj4ELb0EL18RadixRankAlgorithm2EtEvPKT4_Pijj.has_indirect_call, 0
	.section	.AMDGPU.csdata,"",@progbits
; Kernel info:
; codeLenInByte = 2768
; TotalNumSgprs: 16
; NumVgprs: 33
; ScratchSize: 0
; MemoryBound: 0
; FloatMode: 240
; IeeeMode: 1
; LDSByteSize: 7168 bytes/workgroup (compile time only)
; SGPRBlocks: 8
; VGPRBlocks: 8
; NumSGPRsForWavesPerEU: 65
; NumVGPRsForWavesPerEU: 33
; Occupancy: 7
; WaveLimiterHint : 0
; COMPUTE_PGM_RSRC2:SCRATCH_EN: 0
; COMPUTE_PGM_RSRC2:USER_SGPR: 6
; COMPUTE_PGM_RSRC2:TRAP_HANDLER: 0
; COMPUTE_PGM_RSRC2:TGID_X_EN: 1
; COMPUTE_PGM_RSRC2:TGID_Y_EN: 0
; COMPUTE_PGM_RSRC2:TGID_Z_EN: 0
; COMPUTE_PGM_RSRC2:TIDIG_COMP_CNT: 2
	.section	.text._Z11rank_kernelILj128ELj4ELj4ELb0EL18RadixRankAlgorithm2EiEvPKT4_Pijj,"axG",@progbits,_Z11rank_kernelILj128ELj4ELj4ELb0EL18RadixRankAlgorithm2EiEvPKT4_Pijj,comdat
	.protected	_Z11rank_kernelILj128ELj4ELj4ELb0EL18RadixRankAlgorithm2EiEvPKT4_Pijj ; -- Begin function _Z11rank_kernelILj128ELj4ELj4ELb0EL18RadixRankAlgorithm2EiEvPKT4_Pijj
	.globl	_Z11rank_kernelILj128ELj4ELj4ELb0EL18RadixRankAlgorithm2EiEvPKT4_Pijj
	.p2align	8
	.type	_Z11rank_kernelILj128ELj4ELj4ELb0EL18RadixRankAlgorithm2EiEvPKT4_Pijj,@function
_Z11rank_kernelILj128ELj4ELj4ELb0EL18RadixRankAlgorithm2EiEvPKT4_Pijj: ; @_Z11rank_kernelILj128ELj4ELj4ELb0EL18RadixRankAlgorithm2EiEvPKT4_Pijj
; %bb.0:
	s_load_dwordx4 s[0:3], s[4:5], 0x0
	s_load_dwordx2 s[8:9], s[4:5], 0x10
	s_lshl_b32 s6, s6, 9
	s_mov_b32 s7, 0
	s_lshl_b64 s[6:7], s[6:7], 2
	s_waitcnt lgkmcnt(0)
	s_add_u32 s0, s0, s6
	s_addc_u32 s1, s1, s7
	v_lshlrev_b32_e32 v3, 4, v0
	global_load_dwordx4 v[13:16], v3, s[0:1]
	s_load_dword s1, s[4:5], 0x24
	v_mbcnt_lo_u32_b32 v4, -1, 0
	s_movk_i32 s0, 0x100
	v_lshlrev_b32_e32 v5, 2, v0
	v_mbcnt_hi_u32_b32 v7, -1, v4
	v_and_b32_e32 v12, 64, v0
	v_add_u32_e32 v4, v7, v12
	v_and_or_b32 v6, v5, s0, v7
	s_waitcnt lgkmcnt(0)
	s_lshr_b32 s0, s1, 16
	v_lshlrev_b32_e32 v8, 2, v4
	v_bfe_u32 v4, v4, 3, 27
	v_lshrrev_b32_e32 v9, 3, v6
	v_add_u32_e32 v10, 64, v6
	v_or_b32_e32 v17, 0x80, v6
	v_add_u32_e32 v18, 0xc0, v6
	s_and_b32 s1, s1, 0xffff
	v_mad_u32_u24 v1, v2, s0, v1
	v_lshlrev_b32_e32 v11, 2, v6
	v_add_lshl_u32 v6, v4, v8, 2
	v_and_b32_e32 v4, 44, v9
	v_lshrrev_b32_e32 v9, 3, v10
	v_lshrrev_b32_e32 v10, 3, v17
	;; [unrolled: 1-line block ×3, first 2 shown]
	s_and_b32 s9, s9, 31
	v_mad_u32_u24 v1, v1, s1, v0
	v_add_u32_e32 v8, v4, v11
	v_and_b32_e32 v4, 60, v9
	v_and_b32_e32 v10, 60, v10
	;; [unrolled: 1-line block ×3, first 2 shown]
	s_cmp_eq_u32 s9, 0
	v_lshrrev_b32_e32 v1, 4, v1
	v_add_u32_e32 v9, v4, v11
	v_add_u32_e32 v10, v10, v11
	;; [unrolled: 1-line block ×3, first 2 shown]
	s_cselect_b64 s[4:5], -1, 0
	s_and_b32 s0, s8, 31
	v_and_b32_e32 v17, 0xffffffc, v1
	s_add_i32 s0, s0, s9
	s_sub_i32 s8, 32, s9
	s_sub_i32 s9, 32, s0
	v_mov_b32_e32 v3, 0
	s_waitcnt vmcnt(0)
	ds_write2_b32 v6, v13, v14 offset1:1
	ds_write2_b32 v6, v15, v16 offset0:2 offset1:3
	; wave barrier
	ds_read_b32 v1, v8
	ds_read_b32 v15, v9 offset:256
	ds_read_b32 v19, v10 offset:512
	;; [unrolled: 1-line block ×3, first 2 shown]
	s_waitcnt lgkmcnt(0)
	v_xor_b32_e32 v1, 0x80000000, v1
	v_lshlrev_b32_e32 v1, s9, v1
	v_lshrrev_b32_e32 v1, s8, v1
	v_cndmask_b32_e64 v1, v1, 0, s[4:5]
	v_and_b32_e32 v2, 1, v1
	v_add_co_u32_e32 v13, vcc, -1, v2
	v_lshlrev_b32_e32 v4, 30, v1
	v_addc_co_u32_e64 v16, s[0:1], 0, -1, vcc
	v_cmp_ne_u32_e32 vcc, 0, v2
	v_cmp_gt_i64_e64 s[0:1], 0, v[3:4]
	v_not_b32_e32 v2, v4
	v_lshlrev_b32_e32 v4, 29, v1
	v_xor_b32_e32 v16, vcc_hi, v16
	v_xor_b32_e32 v13, vcc_lo, v13
	v_ashrrev_i32_e32 v2, 31, v2
	v_cmp_gt_i64_e32 vcc, 0, v[3:4]
	v_not_b32_e32 v20, v4
	v_mul_lo_u32 v14, v1, 12
	v_lshlrev_b32_e32 v4, 28, v1
	v_and_b32_e32 v1, exec_hi, v16
	v_and_b32_e32 v13, exec_lo, v13
	v_xor_b32_e32 v16, s1, v2
	v_xor_b32_e32 v2, s0, v2
	v_ashrrev_i32_e32 v20, 31, v20
	v_and_b32_e32 v1, v1, v16
	v_and_b32_e32 v2, v13, v2
	v_xor_b32_e32 v13, vcc_hi, v20
	v_xor_b32_e32 v16, vcc_lo, v20
	v_cmp_gt_i64_e64 s[0:1], 0, v[3:4]
	v_and_b32_e32 v1, v1, v13
	v_and_b32_e32 v13, v2, v16
	v_not_b32_e32 v2, v4
	v_ashrrev_i32_e32 v2, 31, v2
	v_xor_b32_e32 v4, s1, v2
	v_xor_b32_e32 v16, s0, v2
	v_and_b32_e32 v2, v1, v4
	v_and_b32_e32 v1, v13, v16
	v_mbcnt_lo_u32_b32 v4, v1, 0
	v_mbcnt_hi_u32_b32 v13, v2, v4
	v_cmp_ne_u64_e32 vcc, 0, v[1:2]
	v_cmp_eq_u32_e64 s[0:1], 0, v13
	s_and_b64 s[10:11], vcc, s[0:1]
	v_add_u32_e32 v14, v17, v14
	s_barrier
	ds_write_b32 v5, v3 offset:8
	s_waitcnt lgkmcnt(0)
	s_barrier
	; wave barrier
	s_and_saveexec_b64 s[0:1], s[10:11]
; %bb.1:
	v_bcnt_u32_b32 v1, v1, 0
	v_bcnt_u32_b32 v1, v2, v1
	ds_write_b32 v14, v1 offset:8
; %bb.2:
	s_or_b64 exec, exec, s[0:1]
	v_xor_b32_e32 v1, 0x80000000, v15
	v_lshlrev_b32_e32 v1, s9, v1
	v_lshrrev_b32_e32 v1, s8, v1
	v_cndmask_b32_e64 v1, v1, 0, s[4:5]
	v_mul_lo_u32 v2, v1, 12
	v_and_b32_e32 v4, 1, v1
	; wave barrier
	v_add_u32_e32 v16, v17, v2
	v_add_co_u32_e32 v2, vcc, -1, v4
	v_addc_co_u32_e64 v20, s[0:1], 0, -1, vcc
	v_cmp_ne_u32_e32 vcc, 0, v4
	v_xor_b32_e32 v4, vcc_hi, v20
	v_and_b32_e32 v20, exec_hi, v4
	v_lshlrev_b32_e32 v4, 30, v1
	v_xor_b32_e32 v2, vcc_lo, v2
	v_cmp_gt_i64_e32 vcc, 0, v[3:4]
	v_not_b32_e32 v4, v4
	v_ashrrev_i32_e32 v4, 31, v4
	v_and_b32_e32 v2, exec_lo, v2
	v_xor_b32_e32 v21, vcc_hi, v4
	v_xor_b32_e32 v4, vcc_lo, v4
	v_and_b32_e32 v2, v2, v4
	v_lshlrev_b32_e32 v4, 29, v1
	v_cmp_gt_i64_e32 vcc, 0, v[3:4]
	v_not_b32_e32 v4, v4
	v_ashrrev_i32_e32 v4, 31, v4
	v_and_b32_e32 v20, v20, v21
	v_xor_b32_e32 v21, vcc_hi, v4
	v_xor_b32_e32 v4, vcc_lo, v4
	v_and_b32_e32 v20, v20, v21
	v_and_b32_e32 v21, v2, v4
	v_lshlrev_b32_e32 v4, 28, v1
	v_cmp_gt_i64_e32 vcc, 0, v[3:4]
	v_not_b32_e32 v1, v4
	v_ashrrev_i32_e32 v1, 31, v1
	v_xor_b32_e32 v2, vcc_hi, v1
	v_xor_b32_e32 v1, vcc_lo, v1
	ds_read_b32 v15, v16 offset:8
	v_and_b32_e32 v1, v21, v1
	v_and_b32_e32 v2, v20, v2
	v_mbcnt_lo_u32_b32 v3, v1, 0
	v_mbcnt_hi_u32_b32 v4, v2, v3
	v_cmp_ne_u64_e32 vcc, 0, v[1:2]
	v_cmp_eq_u32_e64 s[0:1], 0, v4
	s_and_b64 s[10:11], vcc, s[0:1]
	; wave barrier
	s_and_saveexec_b64 s[0:1], s[10:11]
	s_cbranch_execz .LBB63_4
; %bb.3:
	v_bcnt_u32_b32 v1, v1, 0
	v_bcnt_u32_b32 v1, v2, v1
	s_waitcnt lgkmcnt(0)
	v_add_u32_e32 v1, v15, v1
	ds_write_b32 v16, v1 offset:8
.LBB63_4:
	s_or_b64 exec, exec, s[0:1]
	v_xor_b32_e32 v1, 0x80000000, v19
	v_lshlrev_b32_e32 v1, s9, v1
	v_lshrrev_b32_e32 v1, s8, v1
	v_cndmask_b32_e64 v3, v1, 0, s[4:5]
	v_mul_lo_u32 v1, v3, 12
	v_and_b32_e32 v2, 1, v3
	v_add_co_u32_e32 v21, vcc, -1, v2
	v_addc_co_u32_e64 v22, s[0:1], 0, -1, vcc
	v_cmp_ne_u32_e32 vcc, 0, v2
	v_xor_b32_e32 v2, vcc_hi, v22
	v_add_u32_e32 v20, v17, v1
	v_mov_b32_e32 v1, 0
	v_and_b32_e32 v22, exec_hi, v2
	v_lshlrev_b32_e32 v2, 30, v3
	v_xor_b32_e32 v21, vcc_lo, v21
	v_cmp_gt_i64_e32 vcc, 0, v[1:2]
	v_not_b32_e32 v2, v2
	v_ashrrev_i32_e32 v2, 31, v2
	v_and_b32_e32 v21, exec_lo, v21
	v_xor_b32_e32 v23, vcc_hi, v2
	v_xor_b32_e32 v2, vcc_lo, v2
	v_and_b32_e32 v21, v21, v2
	v_lshlrev_b32_e32 v2, 29, v3
	v_cmp_gt_i64_e32 vcc, 0, v[1:2]
	v_not_b32_e32 v2, v2
	v_ashrrev_i32_e32 v2, 31, v2
	v_and_b32_e32 v22, v22, v23
	v_xor_b32_e32 v23, vcc_hi, v2
	v_xor_b32_e32 v2, vcc_lo, v2
	v_and_b32_e32 v21, v21, v2
	v_lshlrev_b32_e32 v2, 28, v3
	v_cmp_gt_i64_e32 vcc, 0, v[1:2]
	v_not_b32_e32 v2, v2
	v_ashrrev_i32_e32 v2, 31, v2
	v_xor_b32_e32 v3, vcc_hi, v2
	v_xor_b32_e32 v2, vcc_lo, v2
	; wave barrier
	ds_read_b32 v19, v20 offset:8
	v_and_b32_e32 v22, v22, v23
	v_and_b32_e32 v2, v21, v2
	v_and_b32_e32 v3, v22, v3
	v_mbcnt_lo_u32_b32 v21, v2, 0
	v_mbcnt_hi_u32_b32 v21, v3, v21
	v_cmp_ne_u64_e32 vcc, 0, v[2:3]
	v_cmp_eq_u32_e64 s[0:1], 0, v21
	s_and_b64 s[10:11], vcc, s[0:1]
	; wave barrier
	s_and_saveexec_b64 s[0:1], s[10:11]
	s_cbranch_execz .LBB63_6
; %bb.5:
	v_bcnt_u32_b32 v2, v2, 0
	v_bcnt_u32_b32 v2, v3, v2
	s_waitcnt lgkmcnt(0)
	v_add_u32_e32 v2, v19, v2
	ds_write_b32 v20, v2 offset:8
.LBB63_6:
	s_or_b64 exec, exec, s[0:1]
	v_xor_b32_e32 v2, 0x80000000, v18
	v_lshlrev_b32_e32 v2, s9, v2
	v_lshrrev_b32_e32 v2, s8, v2
	v_cndmask_b32_e64 v18, v2, 0, s[4:5]
	v_mul_lo_u32 v2, v18, 12
	v_and_b32_e32 v22, 1, v18
	; wave barrier
	v_add_u32_e32 v17, v17, v2
	v_add_co_u32_e32 v2, vcc, -1, v22
	v_addc_co_u32_e64 v23, s[0:1], 0, -1, vcc
	v_cmp_ne_u32_e32 vcc, 0, v22
	v_xor_b32_e32 v2, vcc_lo, v2
	v_xor_b32_e32 v22, vcc_hi, v23
	v_and_b32_e32 v23, exec_lo, v2
	v_lshlrev_b32_e32 v2, 30, v18
	v_cmp_gt_i64_e32 vcc, 0, v[1:2]
	v_not_b32_e32 v2, v2
	v_ashrrev_i32_e32 v2, 31, v2
	v_xor_b32_e32 v24, vcc_hi, v2
	v_xor_b32_e32 v2, vcc_lo, v2
	v_and_b32_e32 v23, v23, v2
	v_lshlrev_b32_e32 v2, 29, v18
	v_cmp_gt_i64_e32 vcc, 0, v[1:2]
	v_not_b32_e32 v2, v2
	v_and_b32_e32 v22, exec_hi, v22
	v_ashrrev_i32_e32 v2, 31, v2
	v_and_b32_e32 v22, v22, v24
	v_xor_b32_e32 v24, vcc_hi, v2
	v_xor_b32_e32 v2, vcc_lo, v2
	v_and_b32_e32 v23, v23, v2
	v_lshlrev_b32_e32 v2, 28, v18
	v_cmp_gt_i64_e32 vcc, 0, v[1:2]
	v_not_b32_e32 v1, v2
	v_ashrrev_i32_e32 v1, 31, v1
	v_xor_b32_e32 v2, vcc_hi, v1
	v_xor_b32_e32 v1, vcc_lo, v1
	ds_read_b32 v3, v17 offset:8
	v_and_b32_e32 v22, v22, v24
	v_and_b32_e32 v1, v23, v1
	;; [unrolled: 1-line block ×3, first 2 shown]
	v_mbcnt_lo_u32_b32 v18, v1, 0
	v_mbcnt_hi_u32_b32 v18, v2, v18
	v_cmp_ne_u64_e32 vcc, 0, v[1:2]
	v_cmp_eq_u32_e64 s[0:1], 0, v18
	s_and_b64 s[4:5], vcc, s[0:1]
	; wave barrier
	s_and_saveexec_b64 s[0:1], s[4:5]
	s_cbranch_execz .LBB63_8
; %bb.7:
	v_bcnt_u32_b32 v1, v1, 0
	v_bcnt_u32_b32 v1, v2, v1
	s_waitcnt lgkmcnt(0)
	v_add_u32_e32 v1, v3, v1
	ds_write_b32 v17, v1 offset:8
.LBB63_8:
	s_or_b64 exec, exec, s[0:1]
	; wave barrier
	s_waitcnt lgkmcnt(0)
	s_barrier
	ds_read_b32 v1, v5 offset:8
	v_and_b32_e32 v2, 15, v7
	v_cmp_ne_u32_e32 vcc, 0, v2
	v_min_u32_e32 v12, 64, v12
	v_or_b32_e32 v12, 63, v12
	s_waitcnt lgkmcnt(0)
	v_mov_b32_dpp v22, v1 row_shr:1 row_mask:0xf bank_mask:0xf
	v_cndmask_b32_e32 v22, 0, v22, vcc
	v_add_u32_e32 v1, v22, v1
	v_cmp_lt_u32_e32 vcc, 1, v2
	s_nop 0
	v_mov_b32_dpp v22, v1 row_shr:2 row_mask:0xf bank_mask:0xf
	v_cndmask_b32_e32 v22, 0, v22, vcc
	v_add_u32_e32 v1, v1, v22
	v_cmp_lt_u32_e32 vcc, 3, v2
	s_nop 0
	;; [unrolled: 5-line block ×3, first 2 shown]
	v_mov_b32_dpp v22, v1 row_shr:8 row_mask:0xf bank_mask:0xf
	v_cndmask_b32_e32 v2, 0, v22, vcc
	v_add_u32_e32 v1, v1, v2
	v_bfe_i32 v22, v7, 4, 1
	v_cmp_lt_u32_e32 vcc, 31, v7
	v_mov_b32_dpp v2, v1 row_bcast:15 row_mask:0xf bank_mask:0xf
	v_and_b32_e32 v2, v22, v2
	v_add_u32_e32 v1, v1, v2
	s_nop 1
	v_mov_b32_dpp v2, v1 row_bcast:31 row_mask:0xf bank_mask:0xf
	v_cndmask_b32_e32 v2, 0, v2, vcc
	v_add_u32_e32 v1, v1, v2
	v_lshrrev_b32_e32 v2, 6, v0
	v_cmp_eq_u32_e32 vcc, v0, v12
	s_and_saveexec_b64 s[0:1], vcc
; %bb.9:
	v_lshlrev_b32_e32 v12, 2, v2
	ds_write_b32 v12, v1
; %bb.10:
	s_or_b64 exec, exec, s[0:1]
	v_cmp_gt_u32_e32 vcc, 2, v0
	s_waitcnt lgkmcnt(0)
	s_barrier
	s_and_saveexec_b64 s[0:1], vcc
	s_cbranch_execz .LBB63_12
; %bb.11:
	ds_read_b32 v12, v5
	v_bfe_i32 v22, v7, 0, 1
	s_waitcnt lgkmcnt(0)
	v_mov_b32_dpp v23, v12 row_shr:1 row_mask:0xf bank_mask:0xf
	v_and_b32_e32 v22, v22, v23
	v_add_u32_e32 v12, v22, v12
	ds_write_b32 v5, v12
.LBB63_12:
	s_or_b64 exec, exec, s[0:1]
	v_cmp_lt_u32_e32 vcc, 63, v0
	v_mov_b32_e32 v0, 0
	s_waitcnt lgkmcnt(0)
	s_barrier
	s_and_saveexec_b64 s[0:1], vcc
; %bb.13:
	v_lshl_add_u32 v0, v2, 2, -4
	ds_read_b32 v0, v0
; %bb.14:
	s_or_b64 exec, exec, s[0:1]
	v_subrev_co_u32_e32 v2, vcc, 1, v7
	v_and_b32_e32 v12, 64, v7
	v_cmp_lt_i32_e64 s[0:1], v2, v12
	v_cndmask_b32_e64 v2, v2, v7, s[0:1]
	s_waitcnt lgkmcnt(0)
	v_add_u32_e32 v1, v0, v1
	v_lshlrev_b32_e32 v2, 2, v2
	ds_bpermute_b32 v1, v2, v1
	s_add_u32 s0, s2, s6
	s_addc_u32 s1, s3, s7
	s_waitcnt lgkmcnt(0)
	v_cndmask_b32_e32 v0, v1, v0, vcc
	ds_write_b32 v5, v0 offset:8
	s_waitcnt lgkmcnt(0)
	s_barrier
	ds_read_b32 v0, v14 offset:8
	ds_read_b32 v1, v16 offset:8
	;; [unrolled: 1-line block ×4, first 2 shown]
	s_waitcnt lgkmcnt(0)
	v_add_u32_e32 v0, v0, v13
	v_add3_u32 v1, v4, v15, v1
	v_add3_u32 v2, v21, v19, v2
	;; [unrolled: 1-line block ×3, first 2 shown]
	s_barrier
	ds_write_b32 v8, v0
	ds_write_b32 v9, v1 offset:256
	ds_write_b32 v10, v2 offset:512
	;; [unrolled: 1-line block ×3, first 2 shown]
	; wave barrier
	ds_read2_b32 v[0:1], v6 offset1:1
	ds_read2_b32 v[2:3], v6 offset0:2 offset1:3
	v_lshlrev_b32_e32 v4, 2, v5
	s_waitcnt lgkmcnt(0)
	global_store_dwordx4 v4, v[0:3], s[0:1]
	s_endpgm
	.section	.rodata,"a",@progbits
	.p2align	6, 0x0
	.amdhsa_kernel _Z11rank_kernelILj128ELj4ELj4ELb0EL18RadixRankAlgorithm2EiEvPKT4_Pijj
		.amdhsa_group_segment_fixed_size 2112
		.amdhsa_private_segment_fixed_size 0
		.amdhsa_kernarg_size 280
		.amdhsa_user_sgpr_count 6
		.amdhsa_user_sgpr_private_segment_buffer 1
		.amdhsa_user_sgpr_dispatch_ptr 0
		.amdhsa_user_sgpr_queue_ptr 0
		.amdhsa_user_sgpr_kernarg_segment_ptr 1
		.amdhsa_user_sgpr_dispatch_id 0
		.amdhsa_user_sgpr_flat_scratch_init 0
		.amdhsa_user_sgpr_private_segment_size 0
		.amdhsa_uses_dynamic_stack 0
		.amdhsa_system_sgpr_private_segment_wavefront_offset 0
		.amdhsa_system_sgpr_workgroup_id_x 1
		.amdhsa_system_sgpr_workgroup_id_y 0
		.amdhsa_system_sgpr_workgroup_id_z 0
		.amdhsa_system_sgpr_workgroup_info 0
		.amdhsa_system_vgpr_workitem_id 2
		.amdhsa_next_free_vgpr 29
		.amdhsa_next_free_sgpr 61
		.amdhsa_reserve_vcc 1
		.amdhsa_reserve_flat_scratch 0
		.amdhsa_float_round_mode_32 0
		.amdhsa_float_round_mode_16_64 0
		.amdhsa_float_denorm_mode_32 3
		.amdhsa_float_denorm_mode_16_64 3
		.amdhsa_dx10_clamp 1
		.amdhsa_ieee_mode 1
		.amdhsa_fp16_overflow 0
		.amdhsa_exception_fp_ieee_invalid_op 0
		.amdhsa_exception_fp_denorm_src 0
		.amdhsa_exception_fp_ieee_div_zero 0
		.amdhsa_exception_fp_ieee_overflow 0
		.amdhsa_exception_fp_ieee_underflow 0
		.amdhsa_exception_fp_ieee_inexact 0
		.amdhsa_exception_int_div_zero 0
	.end_amdhsa_kernel
	.section	.text._Z11rank_kernelILj128ELj4ELj4ELb0EL18RadixRankAlgorithm2EiEvPKT4_Pijj,"axG",@progbits,_Z11rank_kernelILj128ELj4ELj4ELb0EL18RadixRankAlgorithm2EiEvPKT4_Pijj,comdat
.Lfunc_end63:
	.size	_Z11rank_kernelILj128ELj4ELj4ELb0EL18RadixRankAlgorithm2EiEvPKT4_Pijj, .Lfunc_end63-_Z11rank_kernelILj128ELj4ELj4ELb0EL18RadixRankAlgorithm2EiEvPKT4_Pijj
                                        ; -- End function
	.set _Z11rank_kernelILj128ELj4ELj4ELb0EL18RadixRankAlgorithm2EiEvPKT4_Pijj.num_vgpr, 25
	.set _Z11rank_kernelILj128ELj4ELj4ELb0EL18RadixRankAlgorithm2EiEvPKT4_Pijj.num_agpr, 0
	.set _Z11rank_kernelILj128ELj4ELj4ELb0EL18RadixRankAlgorithm2EiEvPKT4_Pijj.numbered_sgpr, 12
	.set _Z11rank_kernelILj128ELj4ELj4ELb0EL18RadixRankAlgorithm2EiEvPKT4_Pijj.num_named_barrier, 0
	.set _Z11rank_kernelILj128ELj4ELj4ELb0EL18RadixRankAlgorithm2EiEvPKT4_Pijj.private_seg_size, 0
	.set _Z11rank_kernelILj128ELj4ELj4ELb0EL18RadixRankAlgorithm2EiEvPKT4_Pijj.uses_vcc, 1
	.set _Z11rank_kernelILj128ELj4ELj4ELb0EL18RadixRankAlgorithm2EiEvPKT4_Pijj.uses_flat_scratch, 0
	.set _Z11rank_kernelILj128ELj4ELj4ELb0EL18RadixRankAlgorithm2EiEvPKT4_Pijj.has_dyn_sized_stack, 0
	.set _Z11rank_kernelILj128ELj4ELj4ELb0EL18RadixRankAlgorithm2EiEvPKT4_Pijj.has_recursion, 0
	.set _Z11rank_kernelILj128ELj4ELj4ELb0EL18RadixRankAlgorithm2EiEvPKT4_Pijj.has_indirect_call, 0
	.section	.AMDGPU.csdata,"",@progbits
; Kernel info:
; codeLenInByte = 1868
; TotalNumSgprs: 16
; NumVgprs: 25
; ScratchSize: 0
; MemoryBound: 0
; FloatMode: 240
; IeeeMode: 1
; LDSByteSize: 2112 bytes/workgroup (compile time only)
; SGPRBlocks: 8
; VGPRBlocks: 7
; NumSGPRsForWavesPerEU: 65
; NumVGPRsForWavesPerEU: 29
; Occupancy: 8
; WaveLimiterHint : 0
; COMPUTE_PGM_RSRC2:SCRATCH_EN: 0
; COMPUTE_PGM_RSRC2:USER_SGPR: 6
; COMPUTE_PGM_RSRC2:TRAP_HANDLER: 0
; COMPUTE_PGM_RSRC2:TGID_X_EN: 1
; COMPUTE_PGM_RSRC2:TGID_Y_EN: 0
; COMPUTE_PGM_RSRC2:TGID_Z_EN: 0
; COMPUTE_PGM_RSRC2:TIDIG_COMP_CNT: 2
	.section	.text._Z11rank_kernelILj64ELj2ELj4ELb1EL18RadixRankAlgorithm2EyEvPKT4_Pijj,"axG",@progbits,_Z11rank_kernelILj64ELj2ELj4ELb1EL18RadixRankAlgorithm2EyEvPKT4_Pijj,comdat
	.protected	_Z11rank_kernelILj64ELj2ELj4ELb1EL18RadixRankAlgorithm2EyEvPKT4_Pijj ; -- Begin function _Z11rank_kernelILj64ELj2ELj4ELb1EL18RadixRankAlgorithm2EyEvPKT4_Pijj
	.globl	_Z11rank_kernelILj64ELj2ELj4ELb1EL18RadixRankAlgorithm2EyEvPKT4_Pijj
	.p2align	8
	.type	_Z11rank_kernelILj64ELj2ELj4ELb1EL18RadixRankAlgorithm2EyEvPKT4_Pijj,@function
_Z11rank_kernelILj64ELj2ELj4ELb1EL18RadixRankAlgorithm2EyEvPKT4_Pijj: ; @_Z11rank_kernelILj64ELj2ELj4ELb1EL18RadixRankAlgorithm2EyEvPKT4_Pijj
; %bb.0:
	s_load_dwordx4 s[0:3], s[4:5], 0x0
	s_load_dwordx2 s[8:9], s[4:5], 0x10
	s_lshl_b32 s6, s6, 7
	s_mov_b32 s7, 0
	s_lshl_b64 s[10:11], s[6:7], 3
	s_waitcnt lgkmcnt(0)
	s_add_u32 s0, s0, s10
	s_addc_u32 s1, s1, s11
	v_lshlrev_b32_e32 v3, 4, v0
	global_load_dwordx4 v[5:8], v3, s[0:1]
	v_mbcnt_lo_u32_b32 v4, -1, 0
	v_mbcnt_hi_u32_b32 v9, -1, v4
	s_load_dword s0, s[4:5], 0x24
	v_lshlrev_b32_e32 v4, 1, v9
	v_bfe_u32 v10, v9, 4, 27
	v_lshrrev_b32_e32 v11, 5, v9
	v_add_u32_e32 v12, 64, v9
	v_add_u32_e32 v10, v10, v4
	;; [unrolled: 1-line block ×3, first 2 shown]
	v_lshrrev_b32_e32 v4, 5, v12
	v_lshlrev_b32_e32 v14, 3, v10
	v_lshlrev_b32_e32 v15, 3, v11
	v_add_u32_e32 v12, v4, v9
	v_lshlrev_b32_e32 v16, 3, v12
	s_waitcnt lgkmcnt(0)
	s_lshr_b32 s1, s0, 16
	s_and_b32 s9, s9, 63
	s_cmp_lg_u32 s9, 0
	v_mov_b32_e32 v3, 0
	v_lshlrev_b32_e32 v13, 2, v0
	v_mul_u32_u24_e32 v4, s1, v2
	s_cselect_b64 s[4:5], -1, 0
	s_cmp_eq_u32 s9, 0
	s_waitcnt vmcnt(0)
	ds_write2_b64 v14, v[5:6], v[7:8] offset1:1
	; wave barrier
	ds_read_b64 v[7:8], v15
	ds_read_b64 v[5:6], v16 offset:512
	s_waitcnt lgkmcnt(0)
	; wave barrier
	ds_write_b32 v13, v3 offset:4
	s_waitcnt lgkmcnt(0)
	; wave barrier
	s_cbranch_scc1 .LBB64_2
; %bb.1:
	s_and_b32 s1, s8, 63
	s_add_i32 s1, s1, s9
	s_sub_i32 s1, 64, s1
	v_lshlrev_b64 v[7:8], s1, v[7:8]
	s_sub_i32 s1, 64, s9
	v_lshrrev_b64 v[7:8], s1, v[7:8]
	v_xor_b32_e32 v2, 15, v7
	s_branch .LBB64_3
.LBB64_2:
	v_mov_b32_e32 v2, 15
.LBB64_3:
	s_and_b32 s0, s0, 0xffff
	v_add_u32_e32 v1, v4, v1
	v_mad_u32_u24 v1, v1, s0, v0
	v_lshrrev_b32_e32 v1, 6, v1
	v_lshlrev_b32_e32 v8, 2, v1
	v_and_b32_e32 v1, 1, v2
	v_add_co_u32_e32 v4, vcc, -1, v1
	v_addc_co_u32_e64 v14, s[0:1], 0, -1, vcc
	v_cmp_ne_u32_e32 vcc, 0, v1
	v_xor_b32_e32 v4, vcc_lo, v4
	v_xor_b32_e32 v1, vcc_hi, v14
	v_and_b32_e32 v14, exec_lo, v4
	v_lshlrev_b32_e32 v4, 30, v2
	v_cmp_gt_i64_e32 vcc, 0, v[3:4]
	v_not_b32_e32 v4, v4
	v_ashrrev_i32_e32 v4, 31, v4
	v_xor_b32_e32 v15, vcc_hi, v4
	v_xor_b32_e32 v4, vcc_lo, v4
	v_and_b32_e32 v14, v14, v4
	v_lshlrev_b32_e32 v4, 29, v2
	v_cmp_gt_i64_e32 vcc, 0, v[3:4]
	v_not_b32_e32 v4, v4
	v_and_b32_e32 v1, exec_hi, v1
	v_ashrrev_i32_e32 v4, 31, v4
	v_and_b32_e32 v1, v1, v15
	v_xor_b32_e32 v15, vcc_hi, v4
	v_xor_b32_e32 v4, vcc_lo, v4
	v_and_b32_e32 v14, v14, v4
	v_lshlrev_b32_e32 v4, 28, v2
	v_lshl_add_u32 v7, v2, 2, v8
	v_cmp_gt_i64_e32 vcc, 0, v[3:4]
	v_not_b32_e32 v2, v4
	v_ashrrev_i32_e32 v2, 31, v2
	v_and_b32_e32 v1, v1, v15
	v_xor_b32_e32 v3, vcc_hi, v2
	v_xor_b32_e32 v4, vcc_lo, v2
	v_and_b32_e32 v2, v1, v3
	v_and_b32_e32 v1, v14, v4
	v_mbcnt_lo_u32_b32 v3, v1, 0
	v_mbcnt_hi_u32_b32 v3, v2, v3
	v_cmp_ne_u64_e32 vcc, 0, v[1:2]
	v_cmp_eq_u32_e64 s[0:1], 0, v3
	s_and_b64 s[10:11], vcc, s[0:1]
	; wave barrier
	s_and_saveexec_b64 s[0:1], s[10:11]
; %bb.4:
	v_bcnt_u32_b32 v1, v1, 0
	v_bcnt_u32_b32 v1, v2, v1
	ds_write_b32 v7, v1 offset:4
; %bb.5:
	s_or_b64 exec, exec, s[0:1]
	s_andn2_b64 vcc, exec, s[4:5]
	; wave barrier
	s_cbranch_vccnz .LBB64_7
; %bb.6:
	s_and_b32 s0, s8, 63
	s_add_i32 s0, s0, s9
	s_sub_i32 s0, 64, s0
	v_lshlrev_b64 v[1:2], s0, v[5:6]
	s_sub_i32 s0, 64, s9
	v_lshrrev_b64 v[1:2], s0, v[1:2]
	v_xor_b32_e32 v1, 15, v1
	s_branch .LBB64_8
.LBB64_7:
	v_mov_b32_e32 v1, 15
.LBB64_8:
	v_and_b32_e32 v2, 1, v1
	v_lshl_add_u32 v6, v1, 2, v8
	v_add_co_u32_e32 v8, vcc, -1, v2
	v_addc_co_u32_e64 v15, s[0:1], 0, -1, vcc
	v_cmp_ne_u32_e32 vcc, 0, v2
	v_mov_b32_e32 v14, 0
	v_xor_b32_e32 v2, vcc_hi, v15
	v_lshlrev_b32_e32 v15, 30, v1
	v_xor_b32_e32 v8, vcc_lo, v8
	v_cmp_gt_i64_e32 vcc, 0, v[14:15]
	v_not_b32_e32 v15, v15
	v_ashrrev_i32_e32 v15, 31, v15
	v_and_b32_e32 v8, exec_lo, v8
	v_xor_b32_e32 v16, vcc_hi, v15
	v_xor_b32_e32 v15, vcc_lo, v15
	v_and_b32_e32 v8, v8, v15
	v_lshlrev_b32_e32 v15, 29, v1
	v_cmp_gt_i64_e32 vcc, 0, v[14:15]
	v_not_b32_e32 v15, v15
	v_and_b32_e32 v2, exec_hi, v2
	v_ashrrev_i32_e32 v15, 31, v15
	v_and_b32_e32 v2, v2, v16
	v_xor_b32_e32 v16, vcc_hi, v15
	v_xor_b32_e32 v15, vcc_lo, v15
	v_and_b32_e32 v8, v8, v15
	v_lshlrev_b32_e32 v15, 28, v1
	v_cmp_gt_i64_e32 vcc, 0, v[14:15]
	v_not_b32_e32 v1, v15
	v_ashrrev_i32_e32 v1, 31, v1
	v_xor_b32_e32 v14, vcc_hi, v1
	v_xor_b32_e32 v1, vcc_lo, v1
	ds_read_b32 v5, v6 offset:4
	v_and_b32_e32 v2, v2, v16
	v_and_b32_e32 v1, v8, v1
	;; [unrolled: 1-line block ×3, first 2 shown]
	v_mbcnt_lo_u32_b32 v8, v1, 0
	v_mbcnt_hi_u32_b32 v8, v2, v8
	v_cmp_ne_u64_e32 vcc, 0, v[1:2]
	v_cmp_eq_u32_e64 s[0:1], 0, v8
	v_lshlrev_b32_e32 v4, 1, v0
	s_and_b64 s[4:5], vcc, s[0:1]
	; wave barrier
	s_and_saveexec_b64 s[0:1], s[4:5]
	s_cbranch_execz .LBB64_10
; %bb.9:
	v_bcnt_u32_b32 v1, v1, 0
	v_bcnt_u32_b32 v1, v2, v1
	s_waitcnt lgkmcnt(0)
	v_add_u32_e32 v1, v5, v1
	ds_write_b32 v6, v1 offset:4
.LBB64_10:
	s_or_b64 exec, exec, s[0:1]
	; wave barrier
	s_waitcnt lgkmcnt(0)
	; wave barrier
	ds_read_b32 v1, v13 offset:4
	v_and_b32_e32 v2, 15, v9
	v_cmp_ne_u32_e32 vcc, 0, v2
	s_waitcnt lgkmcnt(0)
	v_mov_b32_dpp v14, v1 row_shr:1 row_mask:0xf bank_mask:0xf
	v_cndmask_b32_e32 v14, 0, v14, vcc
	v_add_u32_e32 v1, v14, v1
	v_cmp_lt_u32_e32 vcc, 1, v2
	s_nop 0
	v_mov_b32_dpp v14, v1 row_shr:2 row_mask:0xf bank_mask:0xf
	v_cndmask_b32_e32 v14, 0, v14, vcc
	v_add_u32_e32 v1, v1, v14
	v_cmp_lt_u32_e32 vcc, 3, v2
	s_nop 0
	v_mov_b32_dpp v14, v1 row_shr:4 row_mask:0xf bank_mask:0xf
	v_cndmask_b32_e32 v14, 0, v14, vcc
	v_add_u32_e32 v1, v1, v14
	v_cmp_lt_u32_e32 vcc, 7, v2
	s_nop 0
	v_mov_b32_dpp v14, v1 row_shr:8 row_mask:0xf bank_mask:0xf
	v_cndmask_b32_e32 v2, 0, v14, vcc
	v_add_u32_e32 v1, v1, v2
	v_bfe_i32 v14, v9, 4, 1
	v_cmp_lt_u32_e32 vcc, 31, v9
	v_mov_b32_dpp v2, v1 row_bcast:15 row_mask:0xf bank_mask:0xf
	v_and_b32_e32 v2, v14, v2
	v_add_u32_e32 v1, v1, v2
	s_nop 1
	v_mov_b32_dpp v2, v1 row_bcast:31 row_mask:0xf bank_mask:0xf
	v_cndmask_b32_e32 v2, 0, v2, vcc
	v_add_u32_e32 v1, v1, v2
	v_cmp_eq_u32_e32 vcc, 63, v0
	s_and_saveexec_b64 s[0:1], vcc
; %bb.11:
	v_mov_b32_e32 v0, 0
	ds_write_b32 v0, v1
; %bb.12:
	s_or_b64 exec, exec, s[0:1]
	v_subrev_co_u32_e32 v0, vcc, 1, v9
	v_and_b32_e32 v2, 64, v9
	v_cmp_lt_i32_e64 s[0:1], v0, v2
	v_cndmask_b32_e64 v0, v0, v9, s[0:1]
	v_lshlrev_b32_e32 v0, 2, v0
	ds_bpermute_b32 v0, v0, v1
	s_waitcnt lgkmcnt(0)
	; wave barrier
	v_lshlrev_b32_e32 v2, 2, v11
	s_lshl_b64 s[0:1], s[6:7], 2
	v_cndmask_b32_e64 v0, v0, 0, vcc
	ds_write_b32 v13, v0 offset:4
	s_waitcnt lgkmcnt(0)
	; wave barrier
	ds_read_b32 v0, v7 offset:4
	ds_read_b32 v1, v6 offset:4
	s_waitcnt lgkmcnt(0)
	; wave barrier
	s_add_u32 s0, s2, s0
	v_add_u32_e32 v0, v0, v3
	v_add3_u32 v1, v8, v5, v1
	ds_write_b32 v2, v0
	v_lshlrev_b32_e32 v0, 2, v12
	ds_write_b32 v0, v1 offset:256
	v_lshlrev_b32_e32 v0, 2, v10
	; wave barrier
	ds_read2_b32 v[0:1], v0 offset1:1
	s_addc_u32 s1, s3, s1
	v_lshlrev_b32_e32 v2, 2, v4
	s_waitcnt lgkmcnt(0)
	global_store_dwordx2 v2, v[0:1], s[0:1]
	s_endpgm
	.section	.rodata,"a",@progbits
	.p2align	6, 0x0
	.amdhsa_kernel _Z11rank_kernelILj64ELj2ELj4ELb1EL18RadixRankAlgorithm2EyEvPKT4_Pijj
		.amdhsa_group_segment_fixed_size 1056
		.amdhsa_private_segment_fixed_size 0
		.amdhsa_kernarg_size 280
		.amdhsa_user_sgpr_count 6
		.amdhsa_user_sgpr_private_segment_buffer 1
		.amdhsa_user_sgpr_dispatch_ptr 0
		.amdhsa_user_sgpr_queue_ptr 0
		.amdhsa_user_sgpr_kernarg_segment_ptr 1
		.amdhsa_user_sgpr_dispatch_id 0
		.amdhsa_user_sgpr_flat_scratch_init 0
		.amdhsa_user_sgpr_private_segment_size 0
		.amdhsa_uses_dynamic_stack 0
		.amdhsa_system_sgpr_private_segment_wavefront_offset 0
		.amdhsa_system_sgpr_workgroup_id_x 1
		.amdhsa_system_sgpr_workgroup_id_y 0
		.amdhsa_system_sgpr_workgroup_id_z 0
		.amdhsa_system_sgpr_workgroup_info 0
		.amdhsa_system_vgpr_workitem_id 2
		.amdhsa_next_free_vgpr 17
		.amdhsa_next_free_sgpr 12
		.amdhsa_reserve_vcc 1
		.amdhsa_reserve_flat_scratch 0
		.amdhsa_float_round_mode_32 0
		.amdhsa_float_round_mode_16_64 0
		.amdhsa_float_denorm_mode_32 3
		.amdhsa_float_denorm_mode_16_64 3
		.amdhsa_dx10_clamp 1
		.amdhsa_ieee_mode 1
		.amdhsa_fp16_overflow 0
		.amdhsa_exception_fp_ieee_invalid_op 0
		.amdhsa_exception_fp_denorm_src 0
		.amdhsa_exception_fp_ieee_div_zero 0
		.amdhsa_exception_fp_ieee_overflow 0
		.amdhsa_exception_fp_ieee_underflow 0
		.amdhsa_exception_fp_ieee_inexact 0
		.amdhsa_exception_int_div_zero 0
	.end_amdhsa_kernel
	.section	.text._Z11rank_kernelILj64ELj2ELj4ELb1EL18RadixRankAlgorithm2EyEvPKT4_Pijj,"axG",@progbits,_Z11rank_kernelILj64ELj2ELj4ELb1EL18RadixRankAlgorithm2EyEvPKT4_Pijj,comdat
.Lfunc_end64:
	.size	_Z11rank_kernelILj64ELj2ELj4ELb1EL18RadixRankAlgorithm2EyEvPKT4_Pijj, .Lfunc_end64-_Z11rank_kernelILj64ELj2ELj4ELb1EL18RadixRankAlgorithm2EyEvPKT4_Pijj
                                        ; -- End function
	.set _Z11rank_kernelILj64ELj2ELj4ELb1EL18RadixRankAlgorithm2EyEvPKT4_Pijj.num_vgpr, 17
	.set _Z11rank_kernelILj64ELj2ELj4ELb1EL18RadixRankAlgorithm2EyEvPKT4_Pijj.num_agpr, 0
	.set _Z11rank_kernelILj64ELj2ELj4ELb1EL18RadixRankAlgorithm2EyEvPKT4_Pijj.numbered_sgpr, 12
	.set _Z11rank_kernelILj64ELj2ELj4ELb1EL18RadixRankAlgorithm2EyEvPKT4_Pijj.num_named_barrier, 0
	.set _Z11rank_kernelILj64ELj2ELj4ELb1EL18RadixRankAlgorithm2EyEvPKT4_Pijj.private_seg_size, 0
	.set _Z11rank_kernelILj64ELj2ELj4ELb1EL18RadixRankAlgorithm2EyEvPKT4_Pijj.uses_vcc, 1
	.set _Z11rank_kernelILj64ELj2ELj4ELb1EL18RadixRankAlgorithm2EyEvPKT4_Pijj.uses_flat_scratch, 0
	.set _Z11rank_kernelILj64ELj2ELj4ELb1EL18RadixRankAlgorithm2EyEvPKT4_Pijj.has_dyn_sized_stack, 0
	.set _Z11rank_kernelILj64ELj2ELj4ELb1EL18RadixRankAlgorithm2EyEvPKT4_Pijj.has_recursion, 0
	.set _Z11rank_kernelILj64ELj2ELj4ELb1EL18RadixRankAlgorithm2EyEvPKT4_Pijj.has_indirect_call, 0
	.section	.AMDGPU.csdata,"",@progbits
; Kernel info:
; codeLenInByte = 1112
; TotalNumSgprs: 16
; NumVgprs: 17
; ScratchSize: 0
; MemoryBound: 0
; FloatMode: 240
; IeeeMode: 1
; LDSByteSize: 1056 bytes/workgroup (compile time only)
; SGPRBlocks: 1
; VGPRBlocks: 4
; NumSGPRsForWavesPerEU: 16
; NumVGPRsForWavesPerEU: 17
; Occupancy: 10
; WaveLimiterHint : 0
; COMPUTE_PGM_RSRC2:SCRATCH_EN: 0
; COMPUTE_PGM_RSRC2:USER_SGPR: 6
; COMPUTE_PGM_RSRC2:TRAP_HANDLER: 0
; COMPUTE_PGM_RSRC2:TGID_X_EN: 1
; COMPUTE_PGM_RSRC2:TGID_Y_EN: 0
; COMPUTE_PGM_RSRC2:TGID_Z_EN: 0
; COMPUTE_PGM_RSRC2:TIDIG_COMP_CNT: 2
	.section	.text._Z11rank_kernelILj255ELj1ELj4ELb0EL18RadixRankAlgorithm2EhEvPKT4_Pijj,"axG",@progbits,_Z11rank_kernelILj255ELj1ELj4ELb0EL18RadixRankAlgorithm2EhEvPKT4_Pijj,comdat
	.protected	_Z11rank_kernelILj255ELj1ELj4ELb0EL18RadixRankAlgorithm2EhEvPKT4_Pijj ; -- Begin function _Z11rank_kernelILj255ELj1ELj4ELb0EL18RadixRankAlgorithm2EhEvPKT4_Pijj
	.globl	_Z11rank_kernelILj255ELj1ELj4ELb0EL18RadixRankAlgorithm2EhEvPKT4_Pijj
	.p2align	8
	.type	_Z11rank_kernelILj255ELj1ELj4ELb0EL18RadixRankAlgorithm2EhEvPKT4_Pijj,@function
_Z11rank_kernelILj255ELj1ELj4ELb0EL18RadixRankAlgorithm2EhEvPKT4_Pijj: ; @_Z11rank_kernelILj255ELj1ELj4ELb0EL18RadixRankAlgorithm2EhEvPKT4_Pijj
; %bb.0:
	s_load_dwordx4 s[0:3], s[4:5], 0x0
	s_load_dwordx2 s[8:9], s[4:5], 0x10
	s_mulk_i32 s6, 0xff
	v_mbcnt_lo_u32_b32 v3, -1, 0
	v_mbcnt_hi_u32_b32 v4, -1, v3
	s_waitcnt lgkmcnt(0)
	s_add_u32 s0, s0, s6
	s_addc_u32 s1, s1, 0
	global_load_ubyte v8, v0, s[0:1]
	s_load_dword s0, s[4:5], 0x24
	v_and_b32_e32 v6, 0xc0, v0
	v_add_u32_e32 v5, v4, v6
	s_and_b32 s4, s9, 31
	s_and_b32 s5, s8, 31
	s_waitcnt lgkmcnt(0)
	s_lshr_b32 s1, s0, 16
	s_and_b32 s0, s0, 0xffff
	v_mad_u32_u24 v1, v2, s1, v1
	v_mad_u64_u32 v[1:2], s[0:1], v1, s0, v[0:1]
	s_add_i32 s5, s5, s4
	s_sub_i32 s0, 32, s4
	v_lshrrev_b32_e32 v1, 4, v1
	v_and_b32_e32 v9, 0xffffffc, v1
	s_sub_i32 s1, 32, s5
	s_cmp_lg_u32 s4, 0
	s_cselect_b64 vcc, -1, 0
	v_mov_b32_e32 v7, 0
	v_lshlrev_b32_e32 v3, 2, v0
	s_mov_b32 s7, 0
	s_waitcnt vmcnt(0)
	ds_write_b8 v5, v8
	; wave barrier
	ds_read_u8 v1, v5
	s_waitcnt lgkmcnt(0)
	s_barrier
	ds_write_b32 v3, v7 offset:16
	v_lshlrev_b32_e32 v1, s1, v1
	v_bfe_u32 v1, v1, s0, 8
	v_cndmask_b32_e32 v1, 0, v1, vcc
	v_and_b32_e32 v2, 1, v1
	v_add_co_u32_e32 v11, vcc, -1, v2
	v_lshlrev_b32_e32 v8, 30, v1
	v_addc_co_u32_e64 v12, s[0:1], 0, -1, vcc
	v_cmp_ne_u32_e32 vcc, 0, v2
	v_cmp_gt_i64_e64 s[0:1], 0, v[7:8]
	v_not_b32_e32 v2, v8
	v_lshlrev_b32_e32 v8, 29, v1
	v_xor_b32_e32 v12, vcc_hi, v12
	v_xor_b32_e32 v11, vcc_lo, v11
	v_ashrrev_i32_e32 v2, 31, v2
	v_cmp_gt_i64_e32 vcc, 0, v[7:8]
	v_not_b32_e32 v13, v8
	v_lshlrev_b32_e32 v8, 28, v1
	v_mul_u32_u24_e32 v10, 20, v1
	v_and_b32_e32 v1, exec_hi, v12
	v_and_b32_e32 v11, exec_lo, v11
	v_xor_b32_e32 v12, s1, v2
	v_xor_b32_e32 v2, s0, v2
	v_ashrrev_i32_e32 v13, 31, v13
	v_cmp_gt_i64_e64 s[0:1], 0, v[7:8]
	v_not_b32_e32 v7, v8
	v_and_b32_e32 v1, v1, v12
	v_and_b32_e32 v2, v11, v2
	v_xor_b32_e32 v8, vcc_hi, v13
	v_xor_b32_e32 v11, vcc_lo, v13
	v_ashrrev_i32_e32 v7, 31, v7
	v_and_b32_e32 v1, v1, v8
	v_and_b32_e32 v8, v2, v11
	v_xor_b32_e32 v2, s1, v7
	v_xor_b32_e32 v7, s0, v7
	v_and_b32_e32 v2, v1, v2
	v_and_b32_e32 v1, v8, v7
	v_mbcnt_lo_u32_b32 v7, v1, 0
	v_cmp_ne_u64_e32 vcc, 0, v[1:2]
	v_mbcnt_hi_u32_b32 v7, v2, v7
	v_cmp_eq_u32_e64 s[0:1], 0, v7
	s_and_b64 s[4:5], vcc, s[0:1]
	v_add_u32_e32 v8, v9, v10
	s_waitcnt lgkmcnt(0)
	s_barrier
	; wave barrier
	s_and_saveexec_b64 s[0:1], s[4:5]
; %bb.1:
	v_bcnt_u32_b32 v1, v1, 0
	v_bcnt_u32_b32 v1, v2, v1
	ds_write_b32 v8, v1 offset:16
; %bb.2:
	s_or_b64 exec, exec, s[0:1]
	; wave barrier
	s_waitcnt lgkmcnt(0)
	s_barrier
	ds_read_b32 v1, v3 offset:16
	v_and_b32_e32 v2, 15, v4
	v_cmp_ne_u32_e32 vcc, 0, v2
	v_min_u32_e32 v6, 0xbf, v6
	v_add_u32_e32 v6, 63, v6
	s_waitcnt lgkmcnt(0)
	v_mov_b32_dpp v9, v1 row_shr:1 row_mask:0xf bank_mask:0xf
	v_cndmask_b32_e32 v9, 0, v9, vcc
	v_add_u32_e32 v1, v9, v1
	v_cmp_lt_u32_e32 vcc, 1, v2
	s_nop 0
	v_mov_b32_dpp v9, v1 row_shr:2 row_mask:0xf bank_mask:0xf
	v_cndmask_b32_e32 v9, 0, v9, vcc
	v_add_u32_e32 v1, v1, v9
	v_cmp_lt_u32_e32 vcc, 3, v2
	s_nop 0
	;; [unrolled: 5-line block ×3, first 2 shown]
	v_mov_b32_dpp v9, v1 row_shr:8 row_mask:0xf bank_mask:0xf
	v_cndmask_b32_e32 v2, 0, v9, vcc
	v_add_u32_e32 v1, v1, v2
	v_bfe_i32 v9, v4, 4, 1
	v_cmp_lt_u32_e32 vcc, 31, v4
	v_mov_b32_dpp v2, v1 row_bcast:15 row_mask:0xf bank_mask:0xf
	v_and_b32_e32 v2, v9, v2
	v_add_u32_e32 v1, v1, v2
	s_nop 1
	v_mov_b32_dpp v2, v1 row_bcast:31 row_mask:0xf bank_mask:0xf
	v_cndmask_b32_e32 v2, 0, v2, vcc
	v_add_u32_e32 v1, v1, v2
	v_lshrrev_b32_e32 v2, 6, v0
	v_cmp_eq_u32_e32 vcc, v0, v6
	s_and_saveexec_b64 s[0:1], vcc
; %bb.3:
	v_lshlrev_b32_e32 v6, 2, v2
	ds_write_b32 v6, v1
; %bb.4:
	s_or_b64 exec, exec, s[0:1]
	v_cmp_gt_u32_e32 vcc, 4, v0
	s_waitcnt lgkmcnt(0)
	s_barrier
	s_and_saveexec_b64 s[0:1], vcc
	s_cbranch_execz .LBB65_6
; %bb.5:
	ds_read_b32 v6, v3
	v_and_b32_e32 v9, 3, v4
	v_cmp_ne_u32_e32 vcc, 0, v9
	s_waitcnt lgkmcnt(0)
	v_mov_b32_dpp v10, v6 row_shr:1 row_mask:0xf bank_mask:0xf
	v_cndmask_b32_e32 v10, 0, v10, vcc
	v_add_u32_e32 v6, v10, v6
	v_cmp_lt_u32_e32 vcc, 1, v9
	s_nop 0
	v_mov_b32_dpp v10, v6 row_shr:2 row_mask:0xf bank_mask:0xf
	v_cndmask_b32_e32 v9, 0, v10, vcc
	v_add_u32_e32 v6, v6, v9
	ds_write_b32 v3, v6
.LBB65_6:
	s_or_b64 exec, exec, s[0:1]
	v_cmp_lt_u32_e32 vcc, 63, v0
	v_mov_b32_e32 v0, 0
	s_waitcnt lgkmcnt(0)
	s_barrier
	s_and_saveexec_b64 s[0:1], vcc
; %bb.7:
	v_lshl_add_u32 v0, v2, 2, -4
	ds_read_b32 v0, v0
; %bb.8:
	s_or_b64 exec, exec, s[0:1]
	v_subrev_co_u32_e32 v2, vcc, 1, v4
	v_and_b32_e32 v6, 64, v4
	v_cmp_lt_i32_e64 s[0:1], v2, v6
	v_cndmask_b32_e64 v2, v2, v4, s[0:1]
	s_waitcnt lgkmcnt(0)
	v_add_u32_e32 v1, v0, v1
	v_lshlrev_b32_e32 v2, 2, v2
	ds_bpermute_b32 v1, v2, v1
	s_lshl_b64 s[0:1], s[6:7], 2
	s_add_u32 s0, s2, s0
	s_addc_u32 s1, s3, s1
	s_waitcnt lgkmcnt(0)
	v_cndmask_b32_e32 v0, v1, v0, vcc
	ds_write_b32 v3, v0 offset:16
	s_waitcnt lgkmcnt(0)
	s_barrier
	ds_read_b32 v0, v8 offset:16
	v_mad_u32_u24 v1, v5, 3, v5
	s_waitcnt lgkmcnt(0)
	s_barrier
	v_add_u32_e32 v0, v0, v7
	ds_write_b32 v1, v0
	; wave barrier
	ds_read_b32 v0, v1
	s_waitcnt lgkmcnt(0)
	global_store_dword v3, v0, s[0:1]
	s_endpgm
	.section	.rodata,"a",@progbits
	.p2align	6, 0x0
	.amdhsa_kernel _Z11rank_kernelILj255ELj1ELj4ELb0EL18RadixRankAlgorithm2EhEvPKT4_Pijj
		.amdhsa_group_segment_fixed_size 1040
		.amdhsa_private_segment_fixed_size 0
		.amdhsa_kernarg_size 280
		.amdhsa_user_sgpr_count 6
		.amdhsa_user_sgpr_private_segment_buffer 1
		.amdhsa_user_sgpr_dispatch_ptr 0
		.amdhsa_user_sgpr_queue_ptr 0
		.amdhsa_user_sgpr_kernarg_segment_ptr 1
		.amdhsa_user_sgpr_dispatch_id 0
		.amdhsa_user_sgpr_flat_scratch_init 0
		.amdhsa_user_sgpr_private_segment_size 0
		.amdhsa_uses_dynamic_stack 0
		.amdhsa_system_sgpr_private_segment_wavefront_offset 0
		.amdhsa_system_sgpr_workgroup_id_x 1
		.amdhsa_system_sgpr_workgroup_id_y 0
		.amdhsa_system_sgpr_workgroup_id_z 0
		.amdhsa_system_sgpr_workgroup_info 0
		.amdhsa_system_vgpr_workitem_id 2
		.amdhsa_next_free_vgpr 14
		.amdhsa_next_free_sgpr 10
		.amdhsa_reserve_vcc 1
		.amdhsa_reserve_flat_scratch 0
		.amdhsa_float_round_mode_32 0
		.amdhsa_float_round_mode_16_64 0
		.amdhsa_float_denorm_mode_32 3
		.amdhsa_float_denorm_mode_16_64 3
		.amdhsa_dx10_clamp 1
		.amdhsa_ieee_mode 1
		.amdhsa_fp16_overflow 0
		.amdhsa_exception_fp_ieee_invalid_op 0
		.amdhsa_exception_fp_denorm_src 0
		.amdhsa_exception_fp_ieee_div_zero 0
		.amdhsa_exception_fp_ieee_overflow 0
		.amdhsa_exception_fp_ieee_underflow 0
		.amdhsa_exception_fp_ieee_inexact 0
		.amdhsa_exception_int_div_zero 0
	.end_amdhsa_kernel
	.section	.text._Z11rank_kernelILj255ELj1ELj4ELb0EL18RadixRankAlgorithm2EhEvPKT4_Pijj,"axG",@progbits,_Z11rank_kernelILj255ELj1ELj4ELb0EL18RadixRankAlgorithm2EhEvPKT4_Pijj,comdat
.Lfunc_end65:
	.size	_Z11rank_kernelILj255ELj1ELj4ELb0EL18RadixRankAlgorithm2EhEvPKT4_Pijj, .Lfunc_end65-_Z11rank_kernelILj255ELj1ELj4ELb0EL18RadixRankAlgorithm2EhEvPKT4_Pijj
                                        ; -- End function
	.set _Z11rank_kernelILj255ELj1ELj4ELb0EL18RadixRankAlgorithm2EhEvPKT4_Pijj.num_vgpr, 14
	.set _Z11rank_kernelILj255ELj1ELj4ELb0EL18RadixRankAlgorithm2EhEvPKT4_Pijj.num_agpr, 0
	.set _Z11rank_kernelILj255ELj1ELj4ELb0EL18RadixRankAlgorithm2EhEvPKT4_Pijj.numbered_sgpr, 10
	.set _Z11rank_kernelILj255ELj1ELj4ELb0EL18RadixRankAlgorithm2EhEvPKT4_Pijj.num_named_barrier, 0
	.set _Z11rank_kernelILj255ELj1ELj4ELb0EL18RadixRankAlgorithm2EhEvPKT4_Pijj.private_seg_size, 0
	.set _Z11rank_kernelILj255ELj1ELj4ELb0EL18RadixRankAlgorithm2EhEvPKT4_Pijj.uses_vcc, 1
	.set _Z11rank_kernelILj255ELj1ELj4ELb0EL18RadixRankAlgorithm2EhEvPKT4_Pijj.uses_flat_scratch, 0
	.set _Z11rank_kernelILj255ELj1ELj4ELb0EL18RadixRankAlgorithm2EhEvPKT4_Pijj.has_dyn_sized_stack, 0
	.set _Z11rank_kernelILj255ELj1ELj4ELb0EL18RadixRankAlgorithm2EhEvPKT4_Pijj.has_recursion, 0
	.set _Z11rank_kernelILj255ELj1ELj4ELb0EL18RadixRankAlgorithm2EhEvPKT4_Pijj.has_indirect_call, 0
	.section	.AMDGPU.csdata,"",@progbits
; Kernel info:
; codeLenInByte = 908
; TotalNumSgprs: 14
; NumVgprs: 14
; ScratchSize: 0
; MemoryBound: 0
; FloatMode: 240
; IeeeMode: 1
; LDSByteSize: 1040 bytes/workgroup (compile time only)
; SGPRBlocks: 1
; VGPRBlocks: 3
; NumSGPRsForWavesPerEU: 14
; NumVGPRsForWavesPerEU: 14
; Occupancy: 10
; WaveLimiterHint : 0
; COMPUTE_PGM_RSRC2:SCRATCH_EN: 0
; COMPUTE_PGM_RSRC2:USER_SGPR: 6
; COMPUTE_PGM_RSRC2:TRAP_HANDLER: 0
; COMPUTE_PGM_RSRC2:TGID_X_EN: 1
; COMPUTE_PGM_RSRC2:TGID_Y_EN: 0
; COMPUTE_PGM_RSRC2:TGID_Z_EN: 0
; COMPUTE_PGM_RSRC2:TIDIG_COMP_CNT: 2
	.section	.text._Z11rank_kernelILj162ELj1ELj4ELb0EL18RadixRankAlgorithm2EjEvPKT4_Pijj,"axG",@progbits,_Z11rank_kernelILj162ELj1ELj4ELb0EL18RadixRankAlgorithm2EjEvPKT4_Pijj,comdat
	.protected	_Z11rank_kernelILj162ELj1ELj4ELb0EL18RadixRankAlgorithm2EjEvPKT4_Pijj ; -- Begin function _Z11rank_kernelILj162ELj1ELj4ELb0EL18RadixRankAlgorithm2EjEvPKT4_Pijj
	.globl	_Z11rank_kernelILj162ELj1ELj4ELb0EL18RadixRankAlgorithm2EjEvPKT4_Pijj
	.p2align	8
	.type	_Z11rank_kernelILj162ELj1ELj4ELb0EL18RadixRankAlgorithm2EjEvPKT4_Pijj,@function
_Z11rank_kernelILj162ELj1ELj4ELb0EL18RadixRankAlgorithm2EjEvPKT4_Pijj: ; @_Z11rank_kernelILj162ELj1ELj4ELb0EL18RadixRankAlgorithm2EjEvPKT4_Pijj
; %bb.0:
	s_load_dwordx4 s[0:3], s[4:5], 0x0
	s_load_dwordx2 s[8:9], s[4:5], 0x10
	s_mulk_i32 s6, 0xa2
	s_mov_b32 s7, 0
	s_lshl_b64 s[6:7], s[6:7], 2
	s_waitcnt lgkmcnt(0)
	s_add_u32 s0, s0, s6
	s_addc_u32 s1, s1, s7
	v_lshlrev_b32_e32 v3, 2, v0
	global_load_dword v8, v3, s[0:1]
	s_load_dword s0, s[4:5], 0x24
	v_mbcnt_lo_u32_b32 v4, -1, 0
	v_and_b32_e32 v6, 0xc0, v0
	v_mbcnt_hi_u32_b32 v5, -1, v4
	v_lshlrev_b32_e32 v4, 2, v6
	s_waitcnt lgkmcnt(0)
	s_lshr_b32 s1, s0, 16
	s_and_b32 s0, s0, 0xffff
	v_mad_u32_u24 v1, v2, s1, v1
	v_mad_u64_u32 v[1:2], s[0:1], v1, s0, v[0:1]
	v_lshl_add_u32 v4, v5, 2, v4
	s_and_b32 s4, s9, 31
	v_lshrrev_b32_e32 v1, 4, v1
	v_and_b32_e32 v9, 0xffffffc, v1
	s_and_b32 s5, s8, 31
	s_add_i32 s5, s5, s4
	s_sub_i32 s0, 32, s4
	s_sub_i32 s1, 32, s5
	s_cmp_lg_u32 s4, 0
	s_cselect_b64 vcc, -1, 0
	v_mov_b32_e32 v7, 0
	s_waitcnt vmcnt(0)
	ds_write_b32 v4, v8
	; wave barrier
	ds_read_b32 v1, v4
	s_waitcnt lgkmcnt(0)
	s_barrier
	ds_write_b32 v3, v7 offset:12
	v_lshlrev_b32_e32 v1, s1, v1
	v_lshrrev_b32_e32 v1, s0, v1
	v_cndmask_b32_e32 v1, 0, v1, vcc
	v_and_b32_e32 v2, 1, v1
	v_add_co_u32_e32 v11, vcc, -1, v2
	v_lshlrev_b32_e32 v8, 30, v1
	v_addc_co_u32_e64 v12, s[0:1], 0, -1, vcc
	v_cmp_ne_u32_e32 vcc, 0, v2
	v_cmp_gt_i64_e64 s[0:1], 0, v[7:8]
	v_not_b32_e32 v2, v8
	v_lshlrev_b32_e32 v8, 29, v1
	v_xor_b32_e32 v12, vcc_hi, v12
	v_xor_b32_e32 v11, vcc_lo, v11
	v_ashrrev_i32_e32 v2, 31, v2
	v_cmp_gt_i64_e32 vcc, 0, v[7:8]
	v_not_b32_e32 v13, v8
	v_lshlrev_b32_e32 v8, 28, v1
	v_mul_lo_u32 v10, v1, 12
	v_and_b32_e32 v1, exec_hi, v12
	v_and_b32_e32 v11, exec_lo, v11
	v_xor_b32_e32 v12, s1, v2
	v_xor_b32_e32 v2, s0, v2
	v_ashrrev_i32_e32 v13, 31, v13
	v_cmp_gt_i64_e64 s[0:1], 0, v[7:8]
	v_not_b32_e32 v7, v8
	v_and_b32_e32 v1, v1, v12
	v_and_b32_e32 v2, v11, v2
	v_xor_b32_e32 v8, vcc_hi, v13
	v_xor_b32_e32 v11, vcc_lo, v13
	v_ashrrev_i32_e32 v7, 31, v7
	v_and_b32_e32 v1, v1, v8
	v_and_b32_e32 v8, v2, v11
	v_xor_b32_e32 v2, s1, v7
	v_xor_b32_e32 v7, s0, v7
	v_and_b32_e32 v2, v1, v2
	v_and_b32_e32 v1, v8, v7
	v_mbcnt_lo_u32_b32 v7, v1, 0
	v_cmp_ne_u64_e32 vcc, 0, v[1:2]
	v_mbcnt_hi_u32_b32 v7, v2, v7
	v_cmp_eq_u32_e64 s[0:1], 0, v7
	s_and_b64 s[4:5], vcc, s[0:1]
	v_add_u32_e32 v8, v9, v10
	s_waitcnt lgkmcnt(0)
	s_barrier
	; wave barrier
	s_and_saveexec_b64 s[0:1], s[4:5]
; %bb.1:
	v_bcnt_u32_b32 v1, v1, 0
	v_bcnt_u32_b32 v1, v2, v1
	ds_write_b32 v8, v1 offset:12
; %bb.2:
	s_or_b64 exec, exec, s[0:1]
	; wave barrier
	s_waitcnt lgkmcnt(0)
	s_barrier
	ds_read_b32 v1, v3 offset:12
	v_and_b32_e32 v2, 15, v5
	v_cmp_ne_u32_e32 vcc, 0, v2
	v_min_u32_e32 v6, 0x62, v6
	v_add_u32_e32 v6, 63, v6
	s_waitcnt lgkmcnt(0)
	v_mov_b32_dpp v9, v1 row_shr:1 row_mask:0xf bank_mask:0xf
	v_cndmask_b32_e32 v9, 0, v9, vcc
	v_add_u32_e32 v1, v9, v1
	v_cmp_lt_u32_e32 vcc, 1, v2
	s_nop 0
	v_mov_b32_dpp v9, v1 row_shr:2 row_mask:0xf bank_mask:0xf
	v_cndmask_b32_e32 v9, 0, v9, vcc
	v_add_u32_e32 v1, v1, v9
	v_cmp_lt_u32_e32 vcc, 3, v2
	s_nop 0
	;; [unrolled: 5-line block ×3, first 2 shown]
	v_mov_b32_dpp v9, v1 row_shr:8 row_mask:0xf bank_mask:0xf
	v_cndmask_b32_e32 v2, 0, v9, vcc
	v_add_u32_e32 v1, v1, v2
	v_bfe_i32 v9, v5, 4, 1
	v_cmp_lt_u32_e32 vcc, 31, v5
	v_mov_b32_dpp v2, v1 row_bcast:15 row_mask:0xf bank_mask:0xf
	v_and_b32_e32 v2, v9, v2
	v_add_u32_e32 v1, v1, v2
	s_nop 1
	v_mov_b32_dpp v2, v1 row_bcast:31 row_mask:0xf bank_mask:0xf
	v_cndmask_b32_e32 v2, 0, v2, vcc
	v_add_u32_e32 v1, v1, v2
	v_lshrrev_b32_e32 v2, 6, v0
	v_cmp_eq_u32_e32 vcc, v0, v6
	s_and_saveexec_b64 s[0:1], vcc
; %bb.3:
	v_lshlrev_b32_e32 v6, 2, v2
	ds_write_b32 v6, v1
; %bb.4:
	s_or_b64 exec, exec, s[0:1]
	v_cmp_gt_u32_e32 vcc, 3, v0
	s_waitcnt lgkmcnt(0)
	s_barrier
	s_and_saveexec_b64 s[0:1], vcc
	s_cbranch_execz .LBB66_6
; %bb.5:
	ds_read_b32 v6, v3
	v_and_b32_e32 v9, 3, v5
	v_cmp_ne_u32_e32 vcc, 0, v9
	s_waitcnt lgkmcnt(0)
	v_mov_b32_dpp v10, v6 row_shr:1 row_mask:0xf bank_mask:0xf
	v_cndmask_b32_e32 v10, 0, v10, vcc
	v_add_u32_e32 v6, v10, v6
	v_cmp_lt_u32_e32 vcc, 1, v9
	s_nop 0
	v_mov_b32_dpp v10, v6 row_shr:2 row_mask:0xf bank_mask:0xf
	v_cndmask_b32_e32 v9, 0, v10, vcc
	v_add_u32_e32 v6, v6, v9
	ds_write_b32 v3, v6
.LBB66_6:
	s_or_b64 exec, exec, s[0:1]
	v_cmp_lt_u32_e32 vcc, 63, v0
	v_mov_b32_e32 v0, 0
	s_waitcnt lgkmcnt(0)
	s_barrier
	s_and_saveexec_b64 s[0:1], vcc
; %bb.7:
	v_lshl_add_u32 v0, v2, 2, -4
	ds_read_b32 v0, v0
; %bb.8:
	s_or_b64 exec, exec, s[0:1]
	v_subrev_co_u32_e32 v2, vcc, 1, v5
	v_and_b32_e32 v6, 64, v5
	v_cmp_lt_i32_e64 s[0:1], v2, v6
	v_cndmask_b32_e64 v2, v2, v5, s[0:1]
	s_waitcnt lgkmcnt(0)
	v_add_u32_e32 v1, v0, v1
	v_lshlrev_b32_e32 v2, 2, v2
	ds_bpermute_b32 v1, v2, v1
	s_add_u32 s0, s2, s6
	s_addc_u32 s1, s3, s7
	s_waitcnt lgkmcnt(0)
	v_cndmask_b32_e32 v0, v1, v0, vcc
	ds_write_b32 v3, v0 offset:12
	s_waitcnt lgkmcnt(0)
	s_barrier
	ds_read_b32 v0, v8 offset:12
	s_waitcnt lgkmcnt(0)
	s_barrier
	v_add_u32_e32 v0, v0, v7
	ds_write_b32 v4, v0
	; wave barrier
	ds_read_b32 v0, v4
	s_waitcnt lgkmcnt(0)
	global_store_dword v3, v0, s[0:1]
	s_endpgm
	.section	.rodata,"a",@progbits
	.p2align	6, 0x0
	.amdhsa_kernel _Z11rank_kernelILj162ELj1ELj4ELb0EL18RadixRankAlgorithm2EjEvPKT4_Pijj
		.amdhsa_group_segment_fixed_size 672
		.amdhsa_private_segment_fixed_size 0
		.amdhsa_kernarg_size 280
		.amdhsa_user_sgpr_count 6
		.amdhsa_user_sgpr_private_segment_buffer 1
		.amdhsa_user_sgpr_dispatch_ptr 0
		.amdhsa_user_sgpr_queue_ptr 0
		.amdhsa_user_sgpr_kernarg_segment_ptr 1
		.amdhsa_user_sgpr_dispatch_id 0
		.amdhsa_user_sgpr_flat_scratch_init 0
		.amdhsa_user_sgpr_private_segment_size 0
		.amdhsa_uses_dynamic_stack 0
		.amdhsa_system_sgpr_private_segment_wavefront_offset 0
		.amdhsa_system_sgpr_workgroup_id_x 1
		.amdhsa_system_sgpr_workgroup_id_y 0
		.amdhsa_system_sgpr_workgroup_id_z 0
		.amdhsa_system_sgpr_workgroup_info 0
		.amdhsa_system_vgpr_workitem_id 2
		.amdhsa_next_free_vgpr 14
		.amdhsa_next_free_sgpr 10
		.amdhsa_reserve_vcc 1
		.amdhsa_reserve_flat_scratch 0
		.amdhsa_float_round_mode_32 0
		.amdhsa_float_round_mode_16_64 0
		.amdhsa_float_denorm_mode_32 3
		.amdhsa_float_denorm_mode_16_64 3
		.amdhsa_dx10_clamp 1
		.amdhsa_ieee_mode 1
		.amdhsa_fp16_overflow 0
		.amdhsa_exception_fp_ieee_invalid_op 0
		.amdhsa_exception_fp_denorm_src 0
		.amdhsa_exception_fp_ieee_div_zero 0
		.amdhsa_exception_fp_ieee_overflow 0
		.amdhsa_exception_fp_ieee_underflow 0
		.amdhsa_exception_fp_ieee_inexact 0
		.amdhsa_exception_int_div_zero 0
	.end_amdhsa_kernel
	.section	.text._Z11rank_kernelILj162ELj1ELj4ELb0EL18RadixRankAlgorithm2EjEvPKT4_Pijj,"axG",@progbits,_Z11rank_kernelILj162ELj1ELj4ELb0EL18RadixRankAlgorithm2EjEvPKT4_Pijj,comdat
.Lfunc_end66:
	.size	_Z11rank_kernelILj162ELj1ELj4ELb0EL18RadixRankAlgorithm2EjEvPKT4_Pijj, .Lfunc_end66-_Z11rank_kernelILj162ELj1ELj4ELb0EL18RadixRankAlgorithm2EjEvPKT4_Pijj
                                        ; -- End function
	.set _Z11rank_kernelILj162ELj1ELj4ELb0EL18RadixRankAlgorithm2EjEvPKT4_Pijj.num_vgpr, 14
	.set _Z11rank_kernelILj162ELj1ELj4ELb0EL18RadixRankAlgorithm2EjEvPKT4_Pijj.num_agpr, 0
	.set _Z11rank_kernelILj162ELj1ELj4ELb0EL18RadixRankAlgorithm2EjEvPKT4_Pijj.numbered_sgpr, 10
	.set _Z11rank_kernelILj162ELj1ELj4ELb0EL18RadixRankAlgorithm2EjEvPKT4_Pijj.num_named_barrier, 0
	.set _Z11rank_kernelILj162ELj1ELj4ELb0EL18RadixRankAlgorithm2EjEvPKT4_Pijj.private_seg_size, 0
	.set _Z11rank_kernelILj162ELj1ELj4ELb0EL18RadixRankAlgorithm2EjEvPKT4_Pijj.uses_vcc, 1
	.set _Z11rank_kernelILj162ELj1ELj4ELb0EL18RadixRankAlgorithm2EjEvPKT4_Pijj.uses_flat_scratch, 0
	.set _Z11rank_kernelILj162ELj1ELj4ELb0EL18RadixRankAlgorithm2EjEvPKT4_Pijj.has_dyn_sized_stack, 0
	.set _Z11rank_kernelILj162ELj1ELj4ELb0EL18RadixRankAlgorithm2EjEvPKT4_Pijj.has_recursion, 0
	.set _Z11rank_kernelILj162ELj1ELj4ELb0EL18RadixRankAlgorithm2EjEvPKT4_Pijj.has_indirect_call, 0
	.section	.AMDGPU.csdata,"",@progbits
; Kernel info:
; codeLenInByte = 908
; TotalNumSgprs: 14
; NumVgprs: 14
; ScratchSize: 0
; MemoryBound: 0
; FloatMode: 240
; IeeeMode: 1
; LDSByteSize: 672 bytes/workgroup (compile time only)
; SGPRBlocks: 1
; VGPRBlocks: 3
; NumSGPRsForWavesPerEU: 14
; NumVGPRsForWavesPerEU: 14
; Occupancy: 10
; WaveLimiterHint : 0
; COMPUTE_PGM_RSRC2:SCRATCH_EN: 0
; COMPUTE_PGM_RSRC2:USER_SGPR: 6
; COMPUTE_PGM_RSRC2:TRAP_HANDLER: 0
; COMPUTE_PGM_RSRC2:TGID_X_EN: 1
; COMPUTE_PGM_RSRC2:TGID_Y_EN: 0
; COMPUTE_PGM_RSRC2:TGID_Z_EN: 0
; COMPUTE_PGM_RSRC2:TIDIG_COMP_CNT: 2
	.section	.text._Z11rank_kernelILj510ELj1ELj4ELb1EL18RadixRankAlgorithm2ExEvPKT4_Pijj,"axG",@progbits,_Z11rank_kernelILj510ELj1ELj4ELb1EL18RadixRankAlgorithm2ExEvPKT4_Pijj,comdat
	.protected	_Z11rank_kernelILj510ELj1ELj4ELb1EL18RadixRankAlgorithm2ExEvPKT4_Pijj ; -- Begin function _Z11rank_kernelILj510ELj1ELj4ELb1EL18RadixRankAlgorithm2ExEvPKT4_Pijj
	.globl	_Z11rank_kernelILj510ELj1ELj4ELb1EL18RadixRankAlgorithm2ExEvPKT4_Pijj
	.p2align	8
	.type	_Z11rank_kernelILj510ELj1ELj4ELb1EL18RadixRankAlgorithm2ExEvPKT4_Pijj,@function
_Z11rank_kernelILj510ELj1ELj4ELb1EL18RadixRankAlgorithm2ExEvPKT4_Pijj: ; @_Z11rank_kernelILj510ELj1ELj4ELb1EL18RadixRankAlgorithm2ExEvPKT4_Pijj
; %bb.0:
	s_load_dwordx4 s[0:3], s[4:5], 0x0
	s_load_dwordx2 s[8:9], s[4:5], 0x10
	s_mulk_i32 s6, 0x1fe
	s_mov_b32 s7, 0
	s_lshl_b64 s[10:11], s[6:7], 3
	s_waitcnt lgkmcnt(0)
	s_add_u32 s0, s0, s10
	s_addc_u32 s1, s1, s11
	v_lshlrev_b32_e32 v3, 3, v0
	global_load_dwordx2 v[4:5], v3, s[0:1]
	v_mbcnt_lo_u32_b32 v6, -1, 0
	s_load_dword s0, s[4:5], 0x24
	v_mbcnt_hi_u32_b32 v7, -1, v6
	v_and_b32_e32 v10, 0x1c0, v0
	v_add_u32_e32 v8, v7, v10
	v_lshlrev_b32_e32 v9, 3, v8
	s_waitcnt lgkmcnt(0)
	s_lshr_b32 s1, s0, 16
	v_mul_u32_u24_e32 v2, s1, v2
	s_and_b32 s1, s9, 63
	v_mov_b32_e32 v3, 0
	v_lshlrev_b32_e32 v6, 2, v0
	s_cmp_eq_u32 s1, 0
	s_waitcnt vmcnt(0)
	ds_write_b64 v9, v[4:5]
	; wave barrier
	ds_read_b64 v[4:5], v9
	s_waitcnt lgkmcnt(0)
	s_barrier
	ds_write_b32 v6, v3 offset:32
	s_waitcnt lgkmcnt(0)
	s_barrier
	s_cbranch_scc1 .LBB67_2
; %bb.1:
	s_and_b32 s4, s8, 63
	s_add_i32 s4, s4, s1
	v_xor_b32_e32 v5, 0x80000000, v5
	s_sub_i32 s4, 64, s4
	v_lshlrev_b64 v[4:5], s4, v[4:5]
	s_sub_i32 s1, 64, s1
	v_lshrrev_b64 v[4:5], s1, v[4:5]
	v_xor_b32_e32 v5, 15, v4
	s_branch .LBB67_3
.LBB67_2:
	v_mov_b32_e32 v5, 15
.LBB67_3:
	s_and_b32 s0, s0, 0xffff
	v_add_u32_e32 v1, v2, v1
	v_mad_u64_u32 v[1:2], s[0:1], v1, s0, v[0:1]
	; wave barrier
	v_lshrrev_b32_e32 v1, 4, v1
	v_and_b32_e32 v1, 0xffffffc, v1
	v_mad_u64_u32 v[1:2], s[0:1], v5, 36, v[1:2]
	v_and_b32_e32 v2, 1, v5
	v_add_co_u32_e32 v4, vcc, -1, v2
	v_addc_co_u32_e64 v11, s[0:1], 0, -1, vcc
	v_cmp_ne_u32_e32 vcc, 0, v2
	v_xor_b32_e32 v4, vcc_lo, v4
	v_xor_b32_e32 v2, vcc_hi, v11
	v_and_b32_e32 v11, exec_lo, v4
	v_lshlrev_b32_e32 v4, 30, v5
	v_cmp_gt_i64_e32 vcc, 0, v[3:4]
	v_not_b32_e32 v4, v4
	v_ashrrev_i32_e32 v4, 31, v4
	v_xor_b32_e32 v12, vcc_hi, v4
	v_xor_b32_e32 v4, vcc_lo, v4
	v_and_b32_e32 v11, v11, v4
	v_lshlrev_b32_e32 v4, 29, v5
	v_cmp_gt_i64_e32 vcc, 0, v[3:4]
	v_not_b32_e32 v4, v4
	v_and_b32_e32 v2, exec_hi, v2
	v_ashrrev_i32_e32 v4, 31, v4
	v_and_b32_e32 v2, v2, v12
	v_xor_b32_e32 v12, vcc_hi, v4
	v_xor_b32_e32 v4, vcc_lo, v4
	v_and_b32_e32 v11, v11, v4
	v_lshlrev_b32_e32 v4, 28, v5
	v_cmp_gt_i64_e32 vcc, 0, v[3:4]
	v_not_b32_e32 v3, v4
	v_ashrrev_i32_e32 v3, 31, v3
	v_and_b32_e32 v2, v2, v12
	v_xor_b32_e32 v4, vcc_hi, v3
	v_xor_b32_e32 v5, vcc_lo, v3
	v_and_b32_e32 v3, v2, v4
	v_and_b32_e32 v2, v11, v5
	v_mbcnt_lo_u32_b32 v4, v2, 0
	v_mbcnt_hi_u32_b32 v4, v3, v4
	v_cmp_ne_u64_e32 vcc, 0, v[2:3]
	v_cmp_eq_u32_e64 s[0:1], 0, v4
	s_and_b64 s[4:5], vcc, s[0:1]
	s_and_saveexec_b64 s[0:1], s[4:5]
; %bb.4:
	v_bcnt_u32_b32 v2, v2, 0
	v_bcnt_u32_b32 v2, v3, v2
	ds_write_b32 v1, v2 offset:32
; %bb.5:
	s_or_b64 exec, exec, s[0:1]
	; wave barrier
	s_waitcnt lgkmcnt(0)
	s_barrier
	ds_read_b32 v2, v6 offset:32
	v_and_b32_e32 v3, 15, v7
	v_cmp_ne_u32_e32 vcc, 0, v3
	s_waitcnt lgkmcnt(0)
	v_mov_b32_dpp v5, v2 row_shr:1 row_mask:0xf bank_mask:0xf
	v_cndmask_b32_e32 v5, 0, v5, vcc
	v_add_u32_e32 v2, v5, v2
	v_cmp_lt_u32_e32 vcc, 1, v3
	s_nop 0
	v_mov_b32_dpp v5, v2 row_shr:2 row_mask:0xf bank_mask:0xf
	v_cndmask_b32_e32 v5, 0, v5, vcc
	v_add_u32_e32 v2, v2, v5
	v_cmp_lt_u32_e32 vcc, 3, v3
	s_nop 0
	;; [unrolled: 5-line block ×3, first 2 shown]
	v_mov_b32_dpp v5, v2 row_shr:8 row_mask:0xf bank_mask:0xf
	v_cndmask_b32_e32 v3, 0, v5, vcc
	v_add_u32_e32 v2, v2, v3
	v_bfe_i32 v5, v7, 4, 1
	v_cmp_lt_u32_e32 vcc, 31, v7
	v_mov_b32_dpp v3, v2 row_bcast:15 row_mask:0xf bank_mask:0xf
	v_and_b32_e32 v3, v5, v3
	v_add_u32_e32 v2, v2, v3
	v_min_u32_e32 v5, 0x1be, v10
	v_add_u32_e32 v5, 63, v5
	v_mov_b32_dpp v3, v2 row_bcast:31 row_mask:0xf bank_mask:0xf
	v_cndmask_b32_e32 v3, 0, v3, vcc
	v_add_u32_e32 v2, v2, v3
	v_lshrrev_b32_e32 v3, 6, v0
	v_cmp_eq_u32_e32 vcc, v0, v5
	s_and_saveexec_b64 s[0:1], vcc
; %bb.6:
	v_lshlrev_b32_e32 v5, 2, v3
	ds_write_b32 v5, v2
; %bb.7:
	s_or_b64 exec, exec, s[0:1]
	v_cmp_gt_u32_e32 vcc, 8, v0
	s_waitcnt lgkmcnt(0)
	s_barrier
	s_and_saveexec_b64 s[0:1], vcc
	s_cbranch_execz .LBB67_9
; %bb.8:
	ds_read_b32 v5, v6
	v_and_b32_e32 v10, 7, v7
	v_cmp_ne_u32_e32 vcc, 0, v10
	s_waitcnt lgkmcnt(0)
	v_mov_b32_dpp v11, v5 row_shr:1 row_mask:0xf bank_mask:0xf
	v_cndmask_b32_e32 v11, 0, v11, vcc
	v_add_u32_e32 v5, v11, v5
	v_cmp_lt_u32_e32 vcc, 1, v10
	s_nop 0
	v_mov_b32_dpp v11, v5 row_shr:2 row_mask:0xf bank_mask:0xf
	v_cndmask_b32_e32 v11, 0, v11, vcc
	v_add_u32_e32 v5, v5, v11
	v_cmp_lt_u32_e32 vcc, 3, v10
	s_nop 0
	v_mov_b32_dpp v11, v5 row_shr:4 row_mask:0xf bank_mask:0xf
	v_cndmask_b32_e32 v10, 0, v11, vcc
	v_add_u32_e32 v5, v5, v10
	ds_write_b32 v6, v5
.LBB67_9:
	s_or_b64 exec, exec, s[0:1]
	v_cmp_lt_u32_e32 vcc, 63, v0
	v_mov_b32_e32 v0, 0
	s_waitcnt lgkmcnt(0)
	s_barrier
	s_and_saveexec_b64 s[0:1], vcc
; %bb.10:
	v_lshl_add_u32 v0, v3, 2, -4
	ds_read_b32 v0, v0
; %bb.11:
	s_or_b64 exec, exec, s[0:1]
	v_subrev_co_u32_e32 v3, vcc, 1, v7
	v_and_b32_e32 v5, 64, v7
	v_cmp_lt_i32_e64 s[0:1], v3, v5
	v_cndmask_b32_e64 v3, v3, v7, s[0:1]
	s_waitcnt lgkmcnt(0)
	v_add_u32_e32 v2, v0, v2
	v_lshlrev_b32_e32 v3, 2, v3
	ds_bpermute_b32 v2, v3, v2
	s_lshl_b64 s[0:1], s[6:7], 2
	s_add_u32 s0, s2, s0
	s_addc_u32 s1, s3, s1
	s_waitcnt lgkmcnt(0)
	v_cndmask_b32_e32 v0, v2, v0, vcc
	ds_write_b32 v6, v0 offset:32
	s_waitcnt lgkmcnt(0)
	s_barrier
	ds_read_b32 v0, v1 offset:32
	v_lshlrev_b32_e32 v1, 2, v8
	v_sub_u32_e32 v1, v9, v1
	s_waitcnt lgkmcnt(0)
	s_barrier
	v_add_u32_e32 v0, v0, v4
	ds_write_b32 v1, v0
	; wave barrier
	ds_read_b32 v0, v1
	s_waitcnt lgkmcnt(0)
	global_store_dword v6, v0, s[0:1]
	s_endpgm
	.section	.rodata,"a",@progbits
	.p2align	6, 0x0
	.amdhsa_kernel _Z11rank_kernelILj510ELj1ELj4ELb1EL18RadixRankAlgorithm2ExEvPKT4_Pijj
		.amdhsa_group_segment_fixed_size 4080
		.amdhsa_private_segment_fixed_size 0
		.amdhsa_kernarg_size 280
		.amdhsa_user_sgpr_count 6
		.amdhsa_user_sgpr_private_segment_buffer 1
		.amdhsa_user_sgpr_dispatch_ptr 0
		.amdhsa_user_sgpr_queue_ptr 0
		.amdhsa_user_sgpr_kernarg_segment_ptr 1
		.amdhsa_user_sgpr_dispatch_id 0
		.amdhsa_user_sgpr_flat_scratch_init 0
		.amdhsa_user_sgpr_private_segment_size 0
		.amdhsa_uses_dynamic_stack 0
		.amdhsa_system_sgpr_private_segment_wavefront_offset 0
		.amdhsa_system_sgpr_workgroup_id_x 1
		.amdhsa_system_sgpr_workgroup_id_y 0
		.amdhsa_system_sgpr_workgroup_id_z 0
		.amdhsa_system_sgpr_workgroup_info 0
		.amdhsa_system_vgpr_workitem_id 2
		.amdhsa_next_free_vgpr 13
		.amdhsa_next_free_sgpr 12
		.amdhsa_reserve_vcc 1
		.amdhsa_reserve_flat_scratch 0
		.amdhsa_float_round_mode_32 0
		.amdhsa_float_round_mode_16_64 0
		.amdhsa_float_denorm_mode_32 3
		.amdhsa_float_denorm_mode_16_64 3
		.amdhsa_dx10_clamp 1
		.amdhsa_ieee_mode 1
		.amdhsa_fp16_overflow 0
		.amdhsa_exception_fp_ieee_invalid_op 0
		.amdhsa_exception_fp_denorm_src 0
		.amdhsa_exception_fp_ieee_div_zero 0
		.amdhsa_exception_fp_ieee_overflow 0
		.amdhsa_exception_fp_ieee_underflow 0
		.amdhsa_exception_fp_ieee_inexact 0
		.amdhsa_exception_int_div_zero 0
	.end_amdhsa_kernel
	.section	.text._Z11rank_kernelILj510ELj1ELj4ELb1EL18RadixRankAlgorithm2ExEvPKT4_Pijj,"axG",@progbits,_Z11rank_kernelILj510ELj1ELj4ELb1EL18RadixRankAlgorithm2ExEvPKT4_Pijj,comdat
.Lfunc_end67:
	.size	_Z11rank_kernelILj510ELj1ELj4ELb1EL18RadixRankAlgorithm2ExEvPKT4_Pijj, .Lfunc_end67-_Z11rank_kernelILj510ELj1ELj4ELb1EL18RadixRankAlgorithm2ExEvPKT4_Pijj
                                        ; -- End function
	.set _Z11rank_kernelILj510ELj1ELj4ELb1EL18RadixRankAlgorithm2ExEvPKT4_Pijj.num_vgpr, 13
	.set _Z11rank_kernelILj510ELj1ELj4ELb1EL18RadixRankAlgorithm2ExEvPKT4_Pijj.num_agpr, 0
	.set _Z11rank_kernelILj510ELj1ELj4ELb1EL18RadixRankAlgorithm2ExEvPKT4_Pijj.numbered_sgpr, 12
	.set _Z11rank_kernelILj510ELj1ELj4ELb1EL18RadixRankAlgorithm2ExEvPKT4_Pijj.num_named_barrier, 0
	.set _Z11rank_kernelILj510ELj1ELj4ELb1EL18RadixRankAlgorithm2ExEvPKT4_Pijj.private_seg_size, 0
	.set _Z11rank_kernelILj510ELj1ELj4ELb1EL18RadixRankAlgorithm2ExEvPKT4_Pijj.uses_vcc, 1
	.set _Z11rank_kernelILj510ELj1ELj4ELb1EL18RadixRankAlgorithm2ExEvPKT4_Pijj.uses_flat_scratch, 0
	.set _Z11rank_kernelILj510ELj1ELj4ELb1EL18RadixRankAlgorithm2ExEvPKT4_Pijj.has_dyn_sized_stack, 0
	.set _Z11rank_kernelILj510ELj1ELj4ELb1EL18RadixRankAlgorithm2ExEvPKT4_Pijj.has_recursion, 0
	.set _Z11rank_kernelILj510ELj1ELj4ELb1EL18RadixRankAlgorithm2ExEvPKT4_Pijj.has_indirect_call, 0
	.section	.AMDGPU.csdata,"",@progbits
; Kernel info:
; codeLenInByte = 952
; TotalNumSgprs: 16
; NumVgprs: 13
; ScratchSize: 0
; MemoryBound: 0
; FloatMode: 240
; IeeeMode: 1
; LDSByteSize: 4080 bytes/workgroup (compile time only)
; SGPRBlocks: 1
; VGPRBlocks: 3
; NumSGPRsForWavesPerEU: 16
; NumVGPRsForWavesPerEU: 13
; Occupancy: 10
; WaveLimiterHint : 0
; COMPUTE_PGM_RSRC2:SCRATCH_EN: 0
; COMPUTE_PGM_RSRC2:USER_SGPR: 6
; COMPUTE_PGM_RSRC2:TRAP_HANDLER: 0
; COMPUTE_PGM_RSRC2:TGID_X_EN: 1
; COMPUTE_PGM_RSRC2:TGID_Y_EN: 0
; COMPUTE_PGM_RSRC2:TGID_Z_EN: 0
; COMPUTE_PGM_RSRC2:TIDIG_COMP_CNT: 2
	.section	.text._Z11rank_kernelILj37ELj1ELj4ELb0EL18RadixRankAlgorithm2EfEvPKT4_Pijj,"axG",@progbits,_Z11rank_kernelILj37ELj1ELj4ELb0EL18RadixRankAlgorithm2EfEvPKT4_Pijj,comdat
	.protected	_Z11rank_kernelILj37ELj1ELj4ELb0EL18RadixRankAlgorithm2EfEvPKT4_Pijj ; -- Begin function _Z11rank_kernelILj37ELj1ELj4ELb0EL18RadixRankAlgorithm2EfEvPKT4_Pijj
	.globl	_Z11rank_kernelILj37ELj1ELj4ELb0EL18RadixRankAlgorithm2EfEvPKT4_Pijj
	.p2align	8
	.type	_Z11rank_kernelILj37ELj1ELj4ELb0EL18RadixRankAlgorithm2EfEvPKT4_Pijj,@function
_Z11rank_kernelILj37ELj1ELj4ELb0EL18RadixRankAlgorithm2EfEvPKT4_Pijj: ; @_Z11rank_kernelILj37ELj1ELj4ELb0EL18RadixRankAlgorithm2EfEvPKT4_Pijj
; %bb.0:
	s_load_dwordx4 s[0:3], s[4:5], 0x0
	s_load_dwordx2 s[8:9], s[4:5], 0x10
	s_mul_i32 s6, s6, 37
	s_mov_b32 s7, 0
	s_lshl_b64 s[6:7], s[6:7], 2
	s_waitcnt lgkmcnt(0)
	s_add_u32 s0, s0, s6
	s_addc_u32 s1, s1, s7
	v_lshlrev_b32_e32 v3, 2, v0
	global_load_dword v6, v3, s[0:1]
	s_load_dword s0, s[4:5], 0x24
	v_mbcnt_lo_u32_b32 v4, -1, 0
	v_mbcnt_hi_u32_b32 v5, -1, v4
	v_lshlrev_b32_e32 v4, 2, v5
	v_bfrev_b32_e32 v8, 1
	s_waitcnt lgkmcnt(0)
	s_lshr_b32 s4, s0, 16
	v_mad_u32_u24 v1, v2, s4, v1
	s_brev_b32 s1, -2
	s_and_b32 s5, s9, 31
	s_and_b32 s8, s8, 31
	;; [unrolled: 1-line block ×3, first 2 shown]
	s_add_i32 s8, s8, s5
	s_sub_i32 s4, 32, s5
	v_mad_u32_u24 v1, v1, s0, v0
	s_sub_i32 s0, 32, s8
	s_cmp_lg_u32 s5, 0
	v_lshrrev_b32_e32 v1, 4, v1
	v_and_b32_e32 v1, 0xffffffc, v1
	v_mov_b32_e32 v7, 0
	s_waitcnt vmcnt(0)
	ds_write_b32 v4, v6
	; wave barrier
	ds_read_b32 v2, v4
	s_waitcnt lgkmcnt(0)
	; wave barrier
	ds_write_b32 v3, v7 offset:4
	s_waitcnt lgkmcnt(0)
	v_cmp_lt_i32_e32 vcc, -1, v2
	v_cndmask_b32_e32 v6, -1, v8, vcc
	v_xor_b32_e32 v2, v6, v2
	v_cmp_ne_u32_e32 vcc, s1, v2
	v_cndmask_b32_e32 v2, v8, v2, vcc
	v_lshlrev_b32_e32 v2, s0, v2
	v_lshrrev_b32_e32 v2, s4, v2
	s_cselect_b64 vcc, -1, 0
	v_cndmask_b32_e32 v2, 0, v2, vcc
	v_lshl_add_u32 v6, v2, 2, v1
	v_and_b32_e32 v1, 1, v2
	v_add_co_u32_e32 v9, vcc, -1, v1
	v_lshlrev_b32_e32 v8, 30, v2
	v_addc_co_u32_e64 v10, s[0:1], 0, -1, vcc
	v_cmp_ne_u32_e32 vcc, 0, v1
	v_cmp_gt_i64_e64 s[0:1], 0, v[7:8]
	v_not_b32_e32 v1, v8
	v_lshlrev_b32_e32 v8, 29, v2
	v_xor_b32_e32 v10, vcc_hi, v10
	v_xor_b32_e32 v9, vcc_lo, v9
	v_ashrrev_i32_e32 v1, 31, v1
	v_cmp_gt_i64_e32 vcc, 0, v[7:8]
	v_not_b32_e32 v11, v8
	v_lshlrev_b32_e32 v8, 28, v2
	v_and_b32_e32 v2, exec_hi, v10
	v_and_b32_e32 v9, exec_lo, v9
	v_xor_b32_e32 v10, s1, v1
	v_xor_b32_e32 v1, s0, v1
	v_ashrrev_i32_e32 v11, 31, v11
	v_cmp_gt_i64_e64 s[0:1], 0, v[7:8]
	v_not_b32_e32 v7, v8
	v_and_b32_e32 v2, v2, v10
	v_and_b32_e32 v1, v9, v1
	v_xor_b32_e32 v8, vcc_hi, v11
	v_xor_b32_e32 v9, vcc_lo, v11
	v_ashrrev_i32_e32 v7, 31, v7
	v_and_b32_e32 v2, v2, v8
	v_and_b32_e32 v1, v1, v9
	v_xor_b32_e32 v8, s1, v7
	v_xor_b32_e32 v7, s0, v7
	v_and_b32_e32 v1, v1, v7
	v_and_b32_e32 v2, v2, v8
	v_mbcnt_lo_u32_b32 v7, v1, 0
	v_mbcnt_hi_u32_b32 v7, v2, v7
	v_cmp_ne_u64_e32 vcc, 0, v[1:2]
	v_cmp_eq_u32_e64 s[0:1], 0, v7
	s_and_b64 s[4:5], vcc, s[0:1]
	; wave barrier
	; wave barrier
	s_and_saveexec_b64 s[0:1], s[4:5]
; %bb.1:
	v_bcnt_u32_b32 v1, v1, 0
	v_bcnt_u32_b32 v1, v2, v1
	ds_write_b32 v6, v1 offset:4
; %bb.2:
	s_or_b64 exec, exec, s[0:1]
	; wave barrier
	s_waitcnt lgkmcnt(0)
	; wave barrier
	ds_read_b32 v1, v3 offset:4
	v_and_b32_e32 v2, 15, v5
	v_cmp_ne_u32_e32 vcc, 0, v2
	s_waitcnt lgkmcnt(0)
	v_mov_b32_dpp v8, v1 row_shr:1 row_mask:0xf bank_mask:0xf
	v_cndmask_b32_e32 v8, 0, v8, vcc
	v_add_u32_e32 v1, v8, v1
	v_cmp_lt_u32_e32 vcc, 1, v2
	s_nop 0
	v_mov_b32_dpp v8, v1 row_shr:2 row_mask:0xf bank_mask:0xf
	v_cndmask_b32_e32 v8, 0, v8, vcc
	v_add_u32_e32 v1, v1, v8
	v_cmp_lt_u32_e32 vcc, 3, v2
	s_nop 0
	;; [unrolled: 5-line block ×3, first 2 shown]
	v_mov_b32_dpp v8, v1 row_shr:8 row_mask:0xf bank_mask:0xf
	v_cndmask_b32_e32 v2, 0, v8, vcc
	v_add_u32_e32 v1, v1, v2
	v_bfe_i32 v8, v5, 4, 1
	v_cmp_lt_u32_e32 vcc, 31, v5
	v_mov_b32_dpp v2, v1 row_bcast:15 row_mask:0xf bank_mask:0xf
	v_and_b32_e32 v2, v8, v2
	v_add_u32_e32 v1, v1, v2
	s_nop 1
	v_mov_b32_dpp v2, v1 row_bcast:31 row_mask:0xf bank_mask:0xf
	v_cndmask_b32_e32 v2, 0, v2, vcc
	v_add_u32_e32 v1, v1, v2
	v_cmp_eq_u32_e32 vcc, 36, v0
	s_and_saveexec_b64 s[0:1], vcc
; %bb.3:
	v_mov_b32_e32 v0, 0
	ds_write_b32 v0, v1
; %bb.4:
	s_or_b64 exec, exec, s[0:1]
	v_subrev_co_u32_e32 v0, vcc, 1, v5
	v_and_b32_e32 v2, 64, v5
	v_cmp_lt_i32_e64 s[0:1], v0, v2
	v_cndmask_b32_e64 v0, v0, v5, s[0:1]
	v_lshlrev_b32_e32 v0, 2, v0
	ds_bpermute_b32 v0, v0, v1
	s_waitcnt lgkmcnt(0)
	; wave barrier
	s_add_u32 s0, s2, s6
	s_addc_u32 s1, s3, s7
	v_cndmask_b32_e64 v0, v0, 0, vcc
	ds_write_b32 v3, v0 offset:4
	s_waitcnt lgkmcnt(0)
	; wave barrier
	ds_read_b32 v0, v6 offset:4
	s_waitcnt lgkmcnt(0)
	; wave barrier
	v_add_u32_e32 v0, v0, v7
	ds_write_b32 v4, v0
	; wave barrier
	ds_read_b32 v0, v4
	s_waitcnt lgkmcnt(0)
	global_store_dword v3, v0, s[0:1]
	s_endpgm
	.section	.rodata,"a",@progbits
	.p2align	6, 0x0
	.amdhsa_kernel _Z11rank_kernelILj37ELj1ELj4ELb0EL18RadixRankAlgorithm2EfEvPKT4_Pijj
		.amdhsa_group_segment_fixed_size 160
		.amdhsa_private_segment_fixed_size 0
		.amdhsa_kernarg_size 280
		.amdhsa_user_sgpr_count 6
		.amdhsa_user_sgpr_private_segment_buffer 1
		.amdhsa_user_sgpr_dispatch_ptr 0
		.amdhsa_user_sgpr_queue_ptr 0
		.amdhsa_user_sgpr_kernarg_segment_ptr 1
		.amdhsa_user_sgpr_dispatch_id 0
		.amdhsa_user_sgpr_flat_scratch_init 0
		.amdhsa_user_sgpr_private_segment_size 0
		.amdhsa_uses_dynamic_stack 0
		.amdhsa_system_sgpr_private_segment_wavefront_offset 0
		.amdhsa_system_sgpr_workgroup_id_x 1
		.amdhsa_system_sgpr_workgroup_id_y 0
		.amdhsa_system_sgpr_workgroup_id_z 0
		.amdhsa_system_sgpr_workgroup_info 0
		.amdhsa_system_vgpr_workitem_id 2
		.amdhsa_next_free_vgpr 12
		.amdhsa_next_free_sgpr 10
		.amdhsa_reserve_vcc 1
		.amdhsa_reserve_flat_scratch 0
		.amdhsa_float_round_mode_32 0
		.amdhsa_float_round_mode_16_64 0
		.amdhsa_float_denorm_mode_32 3
		.amdhsa_float_denorm_mode_16_64 3
		.amdhsa_dx10_clamp 1
		.amdhsa_ieee_mode 1
		.amdhsa_fp16_overflow 0
		.amdhsa_exception_fp_ieee_invalid_op 0
		.amdhsa_exception_fp_denorm_src 0
		.amdhsa_exception_fp_ieee_div_zero 0
		.amdhsa_exception_fp_ieee_overflow 0
		.amdhsa_exception_fp_ieee_underflow 0
		.amdhsa_exception_fp_ieee_inexact 0
		.amdhsa_exception_int_div_zero 0
	.end_amdhsa_kernel
	.section	.text._Z11rank_kernelILj37ELj1ELj4ELb0EL18RadixRankAlgorithm2EfEvPKT4_Pijj,"axG",@progbits,_Z11rank_kernelILj37ELj1ELj4ELb0EL18RadixRankAlgorithm2EfEvPKT4_Pijj,comdat
.Lfunc_end68:
	.size	_Z11rank_kernelILj37ELj1ELj4ELb0EL18RadixRankAlgorithm2EfEvPKT4_Pijj, .Lfunc_end68-_Z11rank_kernelILj37ELj1ELj4ELb0EL18RadixRankAlgorithm2EfEvPKT4_Pijj
                                        ; -- End function
	.set _Z11rank_kernelILj37ELj1ELj4ELb0EL18RadixRankAlgorithm2EfEvPKT4_Pijj.num_vgpr, 12
	.set _Z11rank_kernelILj37ELj1ELj4ELb0EL18RadixRankAlgorithm2EfEvPKT4_Pijj.num_agpr, 0
	.set _Z11rank_kernelILj37ELj1ELj4ELb0EL18RadixRankAlgorithm2EfEvPKT4_Pijj.numbered_sgpr, 10
	.set _Z11rank_kernelILj37ELj1ELj4ELb0EL18RadixRankAlgorithm2EfEvPKT4_Pijj.num_named_barrier, 0
	.set _Z11rank_kernelILj37ELj1ELj4ELb0EL18RadixRankAlgorithm2EfEvPKT4_Pijj.private_seg_size, 0
	.set _Z11rank_kernelILj37ELj1ELj4ELb0EL18RadixRankAlgorithm2EfEvPKT4_Pijj.uses_vcc, 1
	.set _Z11rank_kernelILj37ELj1ELj4ELb0EL18RadixRankAlgorithm2EfEvPKT4_Pijj.uses_flat_scratch, 0
	.set _Z11rank_kernelILj37ELj1ELj4ELb0EL18RadixRankAlgorithm2EfEvPKT4_Pijj.has_dyn_sized_stack, 0
	.set _Z11rank_kernelILj37ELj1ELj4ELb0EL18RadixRankAlgorithm2EfEvPKT4_Pijj.has_recursion, 0
	.set _Z11rank_kernelILj37ELj1ELj4ELb0EL18RadixRankAlgorithm2EfEvPKT4_Pijj.has_indirect_call, 0
	.section	.AMDGPU.csdata,"",@progbits
; Kernel info:
; codeLenInByte = 744
; TotalNumSgprs: 14
; NumVgprs: 12
; ScratchSize: 0
; MemoryBound: 0
; FloatMode: 240
; IeeeMode: 1
; LDSByteSize: 160 bytes/workgroup (compile time only)
; SGPRBlocks: 1
; VGPRBlocks: 2
; NumSGPRsForWavesPerEU: 14
; NumVGPRsForWavesPerEU: 12
; Occupancy: 10
; WaveLimiterHint : 0
; COMPUTE_PGM_RSRC2:SCRATCH_EN: 0
; COMPUTE_PGM_RSRC2:USER_SGPR: 6
; COMPUTE_PGM_RSRC2:TRAP_HANDLER: 0
; COMPUTE_PGM_RSRC2:TGID_X_EN: 1
; COMPUTE_PGM_RSRC2:TGID_Y_EN: 0
; COMPUTE_PGM_RSRC2:TGID_Z_EN: 0
; COMPUTE_PGM_RSRC2:TIDIG_COMP_CNT: 2
	.section	.text._Z11rank_kernelILj65ELj1ELj4ELb0EL18RadixRankAlgorithm2EdEvPKT4_Pijj,"axG",@progbits,_Z11rank_kernelILj65ELj1ELj4ELb0EL18RadixRankAlgorithm2EdEvPKT4_Pijj,comdat
	.protected	_Z11rank_kernelILj65ELj1ELj4ELb0EL18RadixRankAlgorithm2EdEvPKT4_Pijj ; -- Begin function _Z11rank_kernelILj65ELj1ELj4ELb0EL18RadixRankAlgorithm2EdEvPKT4_Pijj
	.globl	_Z11rank_kernelILj65ELj1ELj4ELb0EL18RadixRankAlgorithm2EdEvPKT4_Pijj
	.p2align	8
	.type	_Z11rank_kernelILj65ELj1ELj4ELb0EL18RadixRankAlgorithm2EdEvPKT4_Pijj,@function
_Z11rank_kernelILj65ELj1ELj4ELb0EL18RadixRankAlgorithm2EdEvPKT4_Pijj: ; @_Z11rank_kernelILj65ELj1ELj4ELb0EL18RadixRankAlgorithm2EdEvPKT4_Pijj
; %bb.0:
	s_load_dwordx4 s[0:3], s[4:5], 0x0
	s_load_dwordx2 s[8:9], s[4:5], 0x10
	s_mulk_i32 s6, 0x41
	s_mov_b32 s7, 0
	s_lshl_b64 s[10:11], s[6:7], 3
	s_waitcnt lgkmcnt(0)
	s_add_u32 s0, s0, s10
	s_addc_u32 s1, s1, s11
	v_lshlrev_b32_e32 v3, 3, v0
	global_load_dwordx2 v[4:5], v3, s[0:1]
	v_mbcnt_lo_u32_b32 v6, -1, 0
	v_mbcnt_hi_u32_b32 v8, -1, v6
	v_and_b32_e32 v6, 64, v0
	s_load_dword s4, s[4:5], 0x24
	v_add_u32_e32 v9, v8, v6
	v_lshlrev_b32_e32 v10, 3, v9
	s_and_b32 s5, s9, 63
	v_mov_b32_e32 v3, 0
	s_waitcnt lgkmcnt(0)
	s_lshr_b32 s1, s4, 16
	s_mov_b32 s0, -1
	v_lshlrev_b32_e32 v7, 2, v0
	v_mul_u32_u24_e32 v2, s1, v2
	s_cmp_eq_u32 s5, 0
	s_waitcnt vmcnt(0)
	ds_write_b64 v10, v[4:5]
	; wave barrier
	ds_read_b64 v[4:5], v10
	s_waitcnt lgkmcnt(0)
	s_barrier
	ds_write_b32 v7, v3 offset:8
	s_waitcnt lgkmcnt(0)
	s_barrier
	s_cbranch_scc1 .LBB69_2
; %bb.1:
	v_cmp_lt_i64_e32 vcc, -1, v[4:5]
	v_bfrev_b32_e32 v6, 1
	v_cndmask_b32_e32 v11, -1, v6, vcc
	v_ashrrev_i32_e32 v12, 31, v5
	v_xor_b32_e32 v5, v11, v5
	v_xor_b32_e32 v4, v12, v4
	s_brev_b32 s1, -2
	v_cmp_ne_u64_e32 vcc, s[0:1], v[4:5]
	s_and_b32 s0, s8, 63
	s_add_i32 s0, s0, s5
	v_cndmask_b32_e32 v5, v6, v5, vcc
	v_cndmask_b32_e32 v4, 0, v4, vcc
	s_sub_i32 s0, 64, s0
	v_lshlrev_b64 v[4:5], s0, v[4:5]
	s_sub_i32 s0, 64, s5
	v_lshrrev_b64 v[5:6], s0, v[4:5]
	s_branch .LBB69_3
.LBB69_2:
	v_mov_b32_e32 v5, 0
.LBB69_3:
	s_and_b32 s0, s4, 0xffff
	v_add_u32_e32 v1, v2, v1
	v_mad_u32_u24 v1, v1, s0, v0
	v_lshrrev_b32_e32 v1, 4, v1
	v_and_b32_e32 v1, 0xffffffc, v1
	v_mad_u64_u32 v[1:2], s[0:1], v5, 12, v[1:2]
	v_and_b32_e32 v2, 1, v5
	v_add_co_u32_e32 v4, vcc, -1, v2
	v_addc_co_u32_e64 v6, s[0:1], 0, -1, vcc
	v_cmp_ne_u32_e32 vcc, 0, v2
	v_xor_b32_e32 v4, vcc_lo, v4
	v_xor_b32_e32 v2, vcc_hi, v6
	v_and_b32_e32 v6, exec_lo, v4
	v_lshlrev_b32_e32 v4, 30, v5
	v_cmp_gt_i64_e32 vcc, 0, v[3:4]
	v_not_b32_e32 v4, v4
	v_ashrrev_i32_e32 v4, 31, v4
	v_xor_b32_e32 v11, vcc_hi, v4
	v_xor_b32_e32 v4, vcc_lo, v4
	v_and_b32_e32 v6, v6, v4
	v_lshlrev_b32_e32 v4, 29, v5
	v_cmp_gt_i64_e32 vcc, 0, v[3:4]
	v_not_b32_e32 v4, v4
	v_and_b32_e32 v2, exec_hi, v2
	v_ashrrev_i32_e32 v4, 31, v4
	v_and_b32_e32 v2, v2, v11
	v_xor_b32_e32 v11, vcc_hi, v4
	v_xor_b32_e32 v4, vcc_lo, v4
	v_and_b32_e32 v6, v6, v4
	v_lshlrev_b32_e32 v4, 28, v5
	v_cmp_gt_i64_e32 vcc, 0, v[3:4]
	v_not_b32_e32 v3, v4
	v_ashrrev_i32_e32 v3, 31, v3
	v_and_b32_e32 v2, v2, v11
	v_xor_b32_e32 v4, vcc_hi, v3
	v_xor_b32_e32 v5, vcc_lo, v3
	v_and_b32_e32 v3, v2, v4
	v_and_b32_e32 v2, v6, v5
	v_mbcnt_lo_u32_b32 v4, v2, 0
	v_mbcnt_hi_u32_b32 v4, v3, v4
	v_cmp_ne_u64_e32 vcc, 0, v[2:3]
	v_cmp_eq_u32_e64 s[0:1], 0, v4
	s_and_b64 s[4:5], vcc, s[0:1]
	; wave barrier
	s_and_saveexec_b64 s[0:1], s[4:5]
; %bb.4:
	v_bcnt_u32_b32 v2, v2, 0
	v_bcnt_u32_b32 v2, v3, v2
	ds_write_b32 v1, v2 offset:8
; %bb.5:
	s_or_b64 exec, exec, s[0:1]
	; wave barrier
	s_waitcnt lgkmcnt(0)
	s_barrier
	ds_read_b32 v2, v7 offset:8
	v_and_b32_e32 v3, 15, v8
	v_cmp_ne_u32_e32 vcc, 0, v3
	v_cmp_gt_u32_e64 s[0:1], 64, v0
	s_waitcnt lgkmcnt(0)
	v_mov_b32_dpp v5, v2 row_shr:1 row_mask:0xf bank_mask:0xf
	v_cndmask_b32_e32 v5, 0, v5, vcc
	v_add_u32_e32 v2, v5, v2
	v_cmp_lt_u32_e32 vcc, 1, v3
	s_nop 0
	v_mov_b32_dpp v5, v2 row_shr:2 row_mask:0xf bank_mask:0xf
	v_cndmask_b32_e32 v5, 0, v5, vcc
	v_add_u32_e32 v2, v2, v5
	v_cmp_lt_u32_e32 vcc, 3, v3
	s_nop 0
	;; [unrolled: 5-line block ×3, first 2 shown]
	v_mov_b32_dpp v5, v2 row_shr:8 row_mask:0xf bank_mask:0xf
	v_cndmask_b32_e32 v3, 0, v5, vcc
	v_add_u32_e32 v2, v2, v3
	v_bfe_i32 v5, v8, 4, 1
	v_cmp_lt_u32_e32 vcc, 31, v8
	v_mov_b32_dpp v3, v2 row_bcast:15 row_mask:0xf bank_mask:0xf
	v_and_b32_e32 v3, v5, v3
	v_add_u32_e32 v2, v2, v3
	v_cndmask_b32_e64 v5, 64, 63, s[0:1]
	v_cmp_eq_u32_e64 s[0:1], v0, v5
	v_mov_b32_dpp v3, v2 row_bcast:31 row_mask:0xf bank_mask:0xf
	v_cndmask_b32_e32 v3, 0, v3, vcc
	v_add_u32_e32 v2, v2, v3
	v_lshrrev_b32_e32 v3, 6, v0
	v_cmp_lt_u32_e32 vcc, 63, v0
	s_and_saveexec_b64 s[4:5], s[0:1]
; %bb.6:
	v_lshlrev_b32_e32 v5, 2, v3
	ds_write_b32 v5, v2
; %bb.7:
	s_or_b64 exec, exec, s[4:5]
	v_cmp_gt_u32_e64 s[0:1], 2, v0
	s_waitcnt lgkmcnt(0)
	s_barrier
	s_and_saveexec_b64 s[4:5], s[0:1]
	s_cbranch_execz .LBB69_9
; %bb.8:
	ds_read_b32 v0, v7
	v_bfe_i32 v5, v8, 0, 1
	s_waitcnt lgkmcnt(0)
	v_mov_b32_dpp v6, v0 row_shr:1 row_mask:0xf bank_mask:0xf
	v_and_b32_e32 v5, v5, v6
	v_add_u32_e32 v0, v5, v0
	ds_write_b32 v7, v0
.LBB69_9:
	s_or_b64 exec, exec, s[4:5]
	v_mov_b32_e32 v0, 0
	s_waitcnt lgkmcnt(0)
	s_barrier
	s_and_saveexec_b64 s[0:1], vcc
; %bb.10:
	v_lshl_add_u32 v0, v3, 2, -4
	ds_read_b32 v0, v0
; %bb.11:
	s_or_b64 exec, exec, s[0:1]
	v_subrev_co_u32_e32 v3, vcc, 1, v8
	v_and_b32_e32 v5, 64, v8
	v_cmp_lt_i32_e64 s[0:1], v3, v5
	v_cndmask_b32_e64 v3, v3, v8, s[0:1]
	s_waitcnt lgkmcnt(0)
	v_add_u32_e32 v2, v0, v2
	v_lshlrev_b32_e32 v3, 2, v3
	ds_bpermute_b32 v2, v3, v2
	s_lshl_b64 s[0:1], s[6:7], 2
	s_add_u32 s0, s2, s0
	s_addc_u32 s1, s3, s1
	s_waitcnt lgkmcnt(0)
	v_cndmask_b32_e32 v0, v2, v0, vcc
	ds_write_b32 v7, v0 offset:8
	s_waitcnt lgkmcnt(0)
	s_barrier
	ds_read_b32 v0, v1 offset:8
	v_lshlrev_b32_e32 v1, 2, v9
	v_sub_u32_e32 v1, v10, v1
	s_waitcnt lgkmcnt(0)
	s_barrier
	v_add_u32_e32 v0, v0, v4
	ds_write_b32 v1, v0
	; wave barrier
	ds_read_b32 v0, v1
	s_waitcnt lgkmcnt(0)
	global_store_dword v7, v0, s[0:1]
	s_endpgm
	.section	.rodata,"a",@progbits
	.p2align	6, 0x0
	.amdhsa_kernel _Z11rank_kernelILj65ELj1ELj4ELb0EL18RadixRankAlgorithm2EdEvPKT4_Pijj
		.amdhsa_group_segment_fixed_size 528
		.amdhsa_private_segment_fixed_size 0
		.amdhsa_kernarg_size 280
		.amdhsa_user_sgpr_count 6
		.amdhsa_user_sgpr_private_segment_buffer 1
		.amdhsa_user_sgpr_dispatch_ptr 0
		.amdhsa_user_sgpr_queue_ptr 0
		.amdhsa_user_sgpr_kernarg_segment_ptr 1
		.amdhsa_user_sgpr_dispatch_id 0
		.amdhsa_user_sgpr_flat_scratch_init 0
		.amdhsa_user_sgpr_private_segment_size 0
		.amdhsa_uses_dynamic_stack 0
		.amdhsa_system_sgpr_private_segment_wavefront_offset 0
		.amdhsa_system_sgpr_workgroup_id_x 1
		.amdhsa_system_sgpr_workgroup_id_y 0
		.amdhsa_system_sgpr_workgroup_id_z 0
		.amdhsa_system_sgpr_workgroup_info 0
		.amdhsa_system_vgpr_workitem_id 2
		.amdhsa_next_free_vgpr 13
		.amdhsa_next_free_sgpr 12
		.amdhsa_reserve_vcc 1
		.amdhsa_reserve_flat_scratch 0
		.amdhsa_float_round_mode_32 0
		.amdhsa_float_round_mode_16_64 0
		.amdhsa_float_denorm_mode_32 3
		.amdhsa_float_denorm_mode_16_64 3
		.amdhsa_dx10_clamp 1
		.amdhsa_ieee_mode 1
		.amdhsa_fp16_overflow 0
		.amdhsa_exception_fp_ieee_invalid_op 0
		.amdhsa_exception_fp_denorm_src 0
		.amdhsa_exception_fp_ieee_div_zero 0
		.amdhsa_exception_fp_ieee_overflow 0
		.amdhsa_exception_fp_ieee_underflow 0
		.amdhsa_exception_fp_ieee_inexact 0
		.amdhsa_exception_int_div_zero 0
	.end_amdhsa_kernel
	.section	.text._Z11rank_kernelILj65ELj1ELj4ELb0EL18RadixRankAlgorithm2EdEvPKT4_Pijj,"axG",@progbits,_Z11rank_kernelILj65ELj1ELj4ELb0EL18RadixRankAlgorithm2EdEvPKT4_Pijj,comdat
.Lfunc_end69:
	.size	_Z11rank_kernelILj65ELj1ELj4ELb0EL18RadixRankAlgorithm2EdEvPKT4_Pijj, .Lfunc_end69-_Z11rank_kernelILj65ELj1ELj4ELb0EL18RadixRankAlgorithm2EdEvPKT4_Pijj
                                        ; -- End function
	.set _Z11rank_kernelILj65ELj1ELj4ELb0EL18RadixRankAlgorithm2EdEvPKT4_Pijj.num_vgpr, 13
	.set _Z11rank_kernelILj65ELj1ELj4ELb0EL18RadixRankAlgorithm2EdEvPKT4_Pijj.num_agpr, 0
	.set _Z11rank_kernelILj65ELj1ELj4ELb0EL18RadixRankAlgorithm2EdEvPKT4_Pijj.numbered_sgpr, 12
	.set _Z11rank_kernelILj65ELj1ELj4ELb0EL18RadixRankAlgorithm2EdEvPKT4_Pijj.num_named_barrier, 0
	.set _Z11rank_kernelILj65ELj1ELj4ELb0EL18RadixRankAlgorithm2EdEvPKT4_Pijj.private_seg_size, 0
	.set _Z11rank_kernelILj65ELj1ELj4ELb0EL18RadixRankAlgorithm2EdEvPKT4_Pijj.uses_vcc, 1
	.set _Z11rank_kernelILj65ELj1ELj4ELb0EL18RadixRankAlgorithm2EdEvPKT4_Pijj.uses_flat_scratch, 0
	.set _Z11rank_kernelILj65ELj1ELj4ELb0EL18RadixRankAlgorithm2EdEvPKT4_Pijj.has_dyn_sized_stack, 0
	.set _Z11rank_kernelILj65ELj1ELj4ELb0EL18RadixRankAlgorithm2EdEvPKT4_Pijj.has_recursion, 0
	.set _Z11rank_kernelILj65ELj1ELj4ELb0EL18RadixRankAlgorithm2EdEvPKT4_Pijj.has_indirect_call, 0
	.section	.AMDGPU.csdata,"",@progbits
; Kernel info:
; codeLenInByte = 944
; TotalNumSgprs: 16
; NumVgprs: 13
; ScratchSize: 0
; MemoryBound: 0
; FloatMode: 240
; IeeeMode: 1
; LDSByteSize: 528 bytes/workgroup (compile time only)
; SGPRBlocks: 1
; VGPRBlocks: 3
; NumSGPRsForWavesPerEU: 16
; NumVGPRsForWavesPerEU: 13
; Occupancy: 10
; WaveLimiterHint : 0
; COMPUTE_PGM_RSRC2:SCRATCH_EN: 0
; COMPUTE_PGM_RSRC2:USER_SGPR: 6
; COMPUTE_PGM_RSRC2:TRAP_HANDLER: 0
; COMPUTE_PGM_RSRC2:TGID_X_EN: 1
; COMPUTE_PGM_RSRC2:TGID_Y_EN: 0
; COMPUTE_PGM_RSRC2:TGID_Z_EN: 0
; COMPUTE_PGM_RSRC2:TIDIG_COMP_CNT: 2
	.section	.text._Z11rank_kernelILj512ELj1ELj4ELb1EL18RadixRankAlgorithm2EtEvPKT4_Pijj,"axG",@progbits,_Z11rank_kernelILj512ELj1ELj4ELb1EL18RadixRankAlgorithm2EtEvPKT4_Pijj,comdat
	.protected	_Z11rank_kernelILj512ELj1ELj4ELb1EL18RadixRankAlgorithm2EtEvPKT4_Pijj ; -- Begin function _Z11rank_kernelILj512ELj1ELj4ELb1EL18RadixRankAlgorithm2EtEvPKT4_Pijj
	.globl	_Z11rank_kernelILj512ELj1ELj4ELb1EL18RadixRankAlgorithm2EtEvPKT4_Pijj
	.p2align	8
	.type	_Z11rank_kernelILj512ELj1ELj4ELb1EL18RadixRankAlgorithm2EtEvPKT4_Pijj,@function
_Z11rank_kernelILj512ELj1ELj4ELb1EL18RadixRankAlgorithm2EtEvPKT4_Pijj: ; @_Z11rank_kernelILj512ELj1ELj4ELb1EL18RadixRankAlgorithm2EtEvPKT4_Pijj
; %bb.0:
	s_load_dwordx4 s[0:3], s[4:5], 0x0
	s_load_dwordx2 s[8:9], s[4:5], 0x10
	s_lshl_b32 s6, s6, 9
	s_mov_b32 s7, 0
	s_lshl_b64 s[10:11], s[6:7], 1
	s_waitcnt lgkmcnt(0)
	s_add_u32 s0, s0, s10
	s_addc_u32 s1, s1, s11
	v_lshlrev_b32_e32 v3, 1, v0
	global_load_ushort v9, v3, s[0:1]
	s_load_dword s0, s[4:5], 0x24
	v_mbcnt_lo_u32_b32 v3, -1, 0
	v_mbcnt_hi_u32_b32 v4, -1, v3
	v_and_b32_e32 v7, 0x1c0, v0
	v_add_u32_e32 v5, v4, v7
	s_waitcnt lgkmcnt(0)
	s_lshr_b32 s1, s0, 16
	s_and_b32 s0, s0, 0xffff
	v_mad_u32_u24 v1, v2, s1, v1
	v_mad_u64_u32 v[1:2], s[0:1], v1, s0, v[0:1]
	v_lshlrev_b32_e32 v6, 1, v5
	s_and_b32 s4, s9, 31
	v_lshrrev_b32_e32 v1, 4, v1
	v_and_b32_e32 v10, 0xffffffc, v1
	s_and_b32 s5, s8, 31
	s_add_i32 s5, s5, s4
	s_sub_i32 s1, 32, s5
	s_sub_i32 s0, 32, s4
	s_cmp_lg_u32 s4, 0
	s_cselect_b64 vcc, -1, 0
	v_mov_b32_e32 v8, 0
	v_lshlrev_b32_e32 v3, 2, v0
	s_waitcnt vmcnt(0)
	ds_write_b16 v6, v9
	; wave barrier
	ds_read_u16 v1, v6
	s_waitcnt lgkmcnt(0)
	s_barrier
	ds_write_b32 v3, v8 offset:32
	v_lshlrev_b32_e32 v1, s1, v1
	v_bfe_u32 v1, v1, s0, 16
	v_xor_b32_e32 v1, 15, v1
	v_cndmask_b32_e32 v1, 15, v1, vcc
	v_and_b32_e32 v2, 1, v1
	v_add_co_u32_e32 v12, vcc, -1, v2
	v_lshlrev_b32_e32 v9, 30, v1
	v_addc_co_u32_e64 v13, s[0:1], 0, -1, vcc
	v_cmp_ne_u32_e32 vcc, 0, v2
	v_cmp_gt_i64_e64 s[0:1], 0, v[8:9]
	v_not_b32_e32 v2, v9
	v_lshlrev_b32_e32 v9, 29, v1
	v_xor_b32_e32 v13, vcc_hi, v13
	v_xor_b32_e32 v12, vcc_lo, v12
	v_ashrrev_i32_e32 v2, 31, v2
	v_cmp_gt_i64_e32 vcc, 0, v[8:9]
	v_not_b32_e32 v14, v9
	v_lshlrev_b32_e32 v9, 28, v1
	v_mul_u32_u24_e32 v11, 36, v1
	v_and_b32_e32 v1, exec_hi, v13
	v_and_b32_e32 v12, exec_lo, v12
	v_xor_b32_e32 v13, s1, v2
	v_xor_b32_e32 v2, s0, v2
	v_ashrrev_i32_e32 v14, 31, v14
	v_cmp_gt_i64_e64 s[0:1], 0, v[8:9]
	v_not_b32_e32 v8, v9
	v_and_b32_e32 v1, v1, v13
	v_and_b32_e32 v2, v12, v2
	v_xor_b32_e32 v9, vcc_hi, v14
	v_xor_b32_e32 v12, vcc_lo, v14
	v_ashrrev_i32_e32 v8, 31, v8
	v_and_b32_e32 v1, v1, v9
	v_and_b32_e32 v9, v2, v12
	v_xor_b32_e32 v2, s1, v8
	v_xor_b32_e32 v8, s0, v8
	v_and_b32_e32 v2, v1, v2
	v_and_b32_e32 v1, v9, v8
	v_mbcnt_lo_u32_b32 v8, v1, 0
	v_cmp_ne_u64_e32 vcc, 0, v[1:2]
	v_mbcnt_hi_u32_b32 v8, v2, v8
	v_cmp_eq_u32_e64 s[0:1], 0, v8
	s_and_b64 s[4:5], vcc, s[0:1]
	v_add_u32_e32 v9, v10, v11
	s_waitcnt lgkmcnt(0)
	s_barrier
	; wave barrier
	s_and_saveexec_b64 s[0:1], s[4:5]
; %bb.1:
	v_bcnt_u32_b32 v1, v1, 0
	v_bcnt_u32_b32 v1, v2, v1
	ds_write_b32 v9, v1 offset:32
; %bb.2:
	s_or_b64 exec, exec, s[0:1]
	; wave barrier
	s_waitcnt lgkmcnt(0)
	s_barrier
	ds_read_b32 v1, v3 offset:32
	v_and_b32_e32 v2, 15, v4
	v_cmp_ne_u32_e32 vcc, 0, v2
	v_min_u32_e32 v7, 0x1c0, v7
	v_or_b32_e32 v7, 63, v7
	s_waitcnt lgkmcnt(0)
	v_mov_b32_dpp v10, v1 row_shr:1 row_mask:0xf bank_mask:0xf
	v_cndmask_b32_e32 v10, 0, v10, vcc
	v_add_u32_e32 v1, v10, v1
	v_cmp_lt_u32_e32 vcc, 1, v2
	s_nop 0
	v_mov_b32_dpp v10, v1 row_shr:2 row_mask:0xf bank_mask:0xf
	v_cndmask_b32_e32 v10, 0, v10, vcc
	v_add_u32_e32 v1, v1, v10
	v_cmp_lt_u32_e32 vcc, 3, v2
	s_nop 0
	;; [unrolled: 5-line block ×3, first 2 shown]
	v_mov_b32_dpp v10, v1 row_shr:8 row_mask:0xf bank_mask:0xf
	v_cndmask_b32_e32 v2, 0, v10, vcc
	v_add_u32_e32 v1, v1, v2
	v_bfe_i32 v10, v4, 4, 1
	v_cmp_lt_u32_e32 vcc, 31, v4
	v_mov_b32_dpp v2, v1 row_bcast:15 row_mask:0xf bank_mask:0xf
	v_and_b32_e32 v2, v10, v2
	v_add_u32_e32 v1, v1, v2
	s_nop 1
	v_mov_b32_dpp v2, v1 row_bcast:31 row_mask:0xf bank_mask:0xf
	v_cndmask_b32_e32 v2, 0, v2, vcc
	v_add_u32_e32 v1, v1, v2
	v_lshrrev_b32_e32 v2, 6, v0
	v_cmp_eq_u32_e32 vcc, v0, v7
	s_and_saveexec_b64 s[0:1], vcc
; %bb.3:
	v_lshlrev_b32_e32 v7, 2, v2
	ds_write_b32 v7, v1
; %bb.4:
	s_or_b64 exec, exec, s[0:1]
	v_cmp_gt_u32_e32 vcc, 8, v0
	s_waitcnt lgkmcnt(0)
	s_barrier
	s_and_saveexec_b64 s[0:1], vcc
	s_cbranch_execz .LBB70_6
; %bb.5:
	ds_read_b32 v7, v3
	v_and_b32_e32 v10, 7, v4
	v_cmp_ne_u32_e32 vcc, 0, v10
	s_waitcnt lgkmcnt(0)
	v_mov_b32_dpp v11, v7 row_shr:1 row_mask:0xf bank_mask:0xf
	v_cndmask_b32_e32 v11, 0, v11, vcc
	v_add_u32_e32 v7, v11, v7
	v_cmp_lt_u32_e32 vcc, 1, v10
	s_nop 0
	v_mov_b32_dpp v11, v7 row_shr:2 row_mask:0xf bank_mask:0xf
	v_cndmask_b32_e32 v11, 0, v11, vcc
	v_add_u32_e32 v7, v7, v11
	v_cmp_lt_u32_e32 vcc, 3, v10
	s_nop 0
	v_mov_b32_dpp v11, v7 row_shr:4 row_mask:0xf bank_mask:0xf
	v_cndmask_b32_e32 v10, 0, v11, vcc
	v_add_u32_e32 v7, v7, v10
	ds_write_b32 v3, v7
.LBB70_6:
	s_or_b64 exec, exec, s[0:1]
	v_cmp_lt_u32_e32 vcc, 63, v0
	v_mov_b32_e32 v0, 0
	s_waitcnt lgkmcnt(0)
	s_barrier
	s_and_saveexec_b64 s[0:1], vcc
; %bb.7:
	v_lshl_add_u32 v0, v2, 2, -4
	ds_read_b32 v0, v0
; %bb.8:
	s_or_b64 exec, exec, s[0:1]
	v_subrev_co_u32_e32 v2, vcc, 1, v4
	v_and_b32_e32 v7, 64, v4
	v_cmp_lt_i32_e64 s[0:1], v2, v7
	v_cndmask_b32_e64 v2, v2, v4, s[0:1]
	s_waitcnt lgkmcnt(0)
	v_add_u32_e32 v1, v0, v1
	v_lshlrev_b32_e32 v2, 2, v2
	ds_bpermute_b32 v1, v2, v1
	s_lshl_b64 s[0:1], s[6:7], 2
	s_add_u32 s0, s2, s0
	s_addc_u32 s1, s3, s1
	s_waitcnt lgkmcnt(0)
	v_cndmask_b32_e32 v0, v1, v0, vcc
	ds_write_b32 v3, v0 offset:32
	s_waitcnt lgkmcnt(0)
	s_barrier
	ds_read_b32 v0, v9 offset:32
	v_lshl_add_u32 v1, v5, 1, v6
	s_waitcnt lgkmcnt(0)
	s_barrier
	v_add_u32_e32 v0, v0, v8
	ds_write_b32 v1, v0
	; wave barrier
	ds_read_b32 v0, v1
	s_waitcnt lgkmcnt(0)
	global_store_dword v3, v0, s[0:1]
	s_endpgm
	.section	.rodata,"a",@progbits
	.p2align	6, 0x0
	.amdhsa_kernel _Z11rank_kernelILj512ELj1ELj4ELb1EL18RadixRankAlgorithm2EtEvPKT4_Pijj
		.amdhsa_group_segment_fixed_size 2080
		.amdhsa_private_segment_fixed_size 0
		.amdhsa_kernarg_size 280
		.amdhsa_user_sgpr_count 6
		.amdhsa_user_sgpr_private_segment_buffer 1
		.amdhsa_user_sgpr_dispatch_ptr 0
		.amdhsa_user_sgpr_queue_ptr 0
		.amdhsa_user_sgpr_kernarg_segment_ptr 1
		.amdhsa_user_sgpr_dispatch_id 0
		.amdhsa_user_sgpr_flat_scratch_init 0
		.amdhsa_user_sgpr_private_segment_size 0
		.amdhsa_uses_dynamic_stack 0
		.amdhsa_system_sgpr_private_segment_wavefront_offset 0
		.amdhsa_system_sgpr_workgroup_id_x 1
		.amdhsa_system_sgpr_workgroup_id_y 0
		.amdhsa_system_sgpr_workgroup_id_z 0
		.amdhsa_system_sgpr_workgroup_info 0
		.amdhsa_system_vgpr_workitem_id 2
		.amdhsa_next_free_vgpr 15
		.amdhsa_next_free_sgpr 12
		.amdhsa_reserve_vcc 1
		.amdhsa_reserve_flat_scratch 0
		.amdhsa_float_round_mode_32 0
		.amdhsa_float_round_mode_16_64 0
		.amdhsa_float_denorm_mode_32 3
		.amdhsa_float_denorm_mode_16_64 3
		.amdhsa_dx10_clamp 1
		.amdhsa_ieee_mode 1
		.amdhsa_fp16_overflow 0
		.amdhsa_exception_fp_ieee_invalid_op 0
		.amdhsa_exception_fp_denorm_src 0
		.amdhsa_exception_fp_ieee_div_zero 0
		.amdhsa_exception_fp_ieee_overflow 0
		.amdhsa_exception_fp_ieee_underflow 0
		.amdhsa_exception_fp_ieee_inexact 0
		.amdhsa_exception_int_div_zero 0
	.end_amdhsa_kernel
	.section	.text._Z11rank_kernelILj512ELj1ELj4ELb1EL18RadixRankAlgorithm2EtEvPKT4_Pijj,"axG",@progbits,_Z11rank_kernelILj512ELj1ELj4ELb1EL18RadixRankAlgorithm2EtEvPKT4_Pijj,comdat
.Lfunc_end70:
	.size	_Z11rank_kernelILj512ELj1ELj4ELb1EL18RadixRankAlgorithm2EtEvPKT4_Pijj, .Lfunc_end70-_Z11rank_kernelILj512ELj1ELj4ELb1EL18RadixRankAlgorithm2EtEvPKT4_Pijj
                                        ; -- End function
	.set _Z11rank_kernelILj512ELj1ELj4ELb1EL18RadixRankAlgorithm2EtEvPKT4_Pijj.num_vgpr, 15
	.set _Z11rank_kernelILj512ELj1ELj4ELb1EL18RadixRankAlgorithm2EtEvPKT4_Pijj.num_agpr, 0
	.set _Z11rank_kernelILj512ELj1ELj4ELb1EL18RadixRankAlgorithm2EtEvPKT4_Pijj.numbered_sgpr, 12
	.set _Z11rank_kernelILj512ELj1ELj4ELb1EL18RadixRankAlgorithm2EtEvPKT4_Pijj.num_named_barrier, 0
	.set _Z11rank_kernelILj512ELj1ELj4ELb1EL18RadixRankAlgorithm2EtEvPKT4_Pijj.private_seg_size, 0
	.set _Z11rank_kernelILj512ELj1ELj4ELb1EL18RadixRankAlgorithm2EtEvPKT4_Pijj.uses_vcc, 1
	.set _Z11rank_kernelILj512ELj1ELj4ELb1EL18RadixRankAlgorithm2EtEvPKT4_Pijj.uses_flat_scratch, 0
	.set _Z11rank_kernelILj512ELj1ELj4ELb1EL18RadixRankAlgorithm2EtEvPKT4_Pijj.has_dyn_sized_stack, 0
	.set _Z11rank_kernelILj512ELj1ELj4ELb1EL18RadixRankAlgorithm2EtEvPKT4_Pijj.has_recursion, 0
	.set _Z11rank_kernelILj512ELj1ELj4ELb1EL18RadixRankAlgorithm2EtEvPKT4_Pijj.has_indirect_call, 0
	.section	.AMDGPU.csdata,"",@progbits
; Kernel info:
; codeLenInByte = 948
; TotalNumSgprs: 16
; NumVgprs: 15
; ScratchSize: 0
; MemoryBound: 0
; FloatMode: 240
; IeeeMode: 1
; LDSByteSize: 2080 bytes/workgroup (compile time only)
; SGPRBlocks: 1
; VGPRBlocks: 3
; NumSGPRsForWavesPerEU: 16
; NumVGPRsForWavesPerEU: 15
; Occupancy: 10
; WaveLimiterHint : 0
; COMPUTE_PGM_RSRC2:SCRATCH_EN: 0
; COMPUTE_PGM_RSRC2:USER_SGPR: 6
; COMPUTE_PGM_RSRC2:TRAP_HANDLER: 0
; COMPUTE_PGM_RSRC2:TGID_X_EN: 1
; COMPUTE_PGM_RSRC2:TGID_Y_EN: 0
; COMPUTE_PGM_RSRC2:TGID_Z_EN: 0
; COMPUTE_PGM_RSRC2:TIDIG_COMP_CNT: 2
	.section	.text._Z11rank_kernelILj256ELj1ELj4ELb0EL18RadixRankAlgorithm2EfEvPKT4_Pijj,"axG",@progbits,_Z11rank_kernelILj256ELj1ELj4ELb0EL18RadixRankAlgorithm2EfEvPKT4_Pijj,comdat
	.protected	_Z11rank_kernelILj256ELj1ELj4ELb0EL18RadixRankAlgorithm2EfEvPKT4_Pijj ; -- Begin function _Z11rank_kernelILj256ELj1ELj4ELb0EL18RadixRankAlgorithm2EfEvPKT4_Pijj
	.globl	_Z11rank_kernelILj256ELj1ELj4ELb0EL18RadixRankAlgorithm2EfEvPKT4_Pijj
	.p2align	8
	.type	_Z11rank_kernelILj256ELj1ELj4ELb0EL18RadixRankAlgorithm2EfEvPKT4_Pijj,@function
_Z11rank_kernelILj256ELj1ELj4ELb0EL18RadixRankAlgorithm2EfEvPKT4_Pijj: ; @_Z11rank_kernelILj256ELj1ELj4ELb0EL18RadixRankAlgorithm2EfEvPKT4_Pijj
; %bb.0:
	s_load_dwordx4 s[0:3], s[4:5], 0x0
	s_load_dwordx2 s[8:9], s[4:5], 0x10
	s_lshl_b32 s6, s6, 8
	s_mov_b32 s7, 0
	s_lshl_b64 s[6:7], s[6:7], 2
	s_waitcnt lgkmcnt(0)
	s_add_u32 s0, s0, s6
	s_addc_u32 s1, s1, s7
	v_lshlrev_b32_e32 v3, 2, v0
	global_load_dword v8, v3, s[0:1]
	s_load_dword s0, s[4:5], 0x24
	v_mbcnt_lo_u32_b32 v4, -1, 0
	v_and_b32_e32 v6, 0xc0, v0
	v_mbcnt_hi_u32_b32 v5, -1, v4
	v_lshlrev_b32_e32 v4, 2, v6
	s_waitcnt lgkmcnt(0)
	s_lshr_b32 s1, s0, 16
	s_and_b32 s0, s0, 0xffff
	v_mad_u32_u24 v1, v2, s1, v1
	v_mad_u64_u32 v[1:2], s[0:1], v1, s0, v[0:1]
	v_lshl_add_u32 v4, v5, 2, v4
	v_bfrev_b32_e32 v9, 1
	v_lshrrev_b32_e32 v1, 4, v1
	v_and_b32_e32 v10, 0xffffffc, v1
	s_brev_b32 s10, -2
	s_and_b32 s4, s9, 31
	s_and_b32 s5, s8, 31
	s_add_i32 s5, s5, s4
	s_sub_i32 s0, 32, s4
	s_sub_i32 s1, 32, s5
	s_cmp_lg_u32 s4, 0
	v_mov_b32_e32 v7, 0
	s_waitcnt vmcnt(0)
	ds_write_b32 v4, v8
	; wave barrier
	ds_read_b32 v1, v4
	s_waitcnt lgkmcnt(0)
	s_barrier
	ds_write_b32 v3, v7 offset:16
	v_cmp_lt_i32_e32 vcc, -1, v1
	v_cndmask_b32_e32 v2, -1, v9, vcc
	v_xor_b32_e32 v1, v2, v1
	v_cmp_ne_u32_e32 vcc, s10, v1
	v_cndmask_b32_e32 v1, v9, v1, vcc
	v_lshlrev_b32_e32 v1, s1, v1
	v_lshrrev_b32_e32 v1, s0, v1
	s_cselect_b64 vcc, -1, 0
	v_cndmask_b32_e32 v1, 0, v1, vcc
	v_and_b32_e32 v2, 1, v1
	v_add_co_u32_e32 v11, vcc, -1, v2
	v_lshlrev_b32_e32 v8, 30, v1
	v_addc_co_u32_e64 v12, s[0:1], 0, -1, vcc
	v_cmp_ne_u32_e32 vcc, 0, v2
	v_cmp_gt_i64_e64 s[0:1], 0, v[7:8]
	v_not_b32_e32 v2, v8
	v_lshlrev_b32_e32 v8, 29, v1
	v_xor_b32_e32 v12, vcc_hi, v12
	v_xor_b32_e32 v11, vcc_lo, v11
	v_ashrrev_i32_e32 v2, 31, v2
	v_cmp_gt_i64_e32 vcc, 0, v[7:8]
	v_not_b32_e32 v13, v8
	v_lshlrev_b32_e32 v8, 28, v1
	v_mul_lo_u32 v9, v1, 20
	v_and_b32_e32 v1, exec_hi, v12
	v_and_b32_e32 v11, exec_lo, v11
	v_xor_b32_e32 v12, s1, v2
	v_xor_b32_e32 v2, s0, v2
	v_ashrrev_i32_e32 v13, 31, v13
	v_cmp_gt_i64_e64 s[0:1], 0, v[7:8]
	v_not_b32_e32 v7, v8
	v_and_b32_e32 v1, v1, v12
	v_and_b32_e32 v2, v11, v2
	v_xor_b32_e32 v8, vcc_hi, v13
	v_xor_b32_e32 v11, vcc_lo, v13
	v_ashrrev_i32_e32 v7, 31, v7
	v_and_b32_e32 v1, v1, v8
	v_and_b32_e32 v8, v2, v11
	v_xor_b32_e32 v2, s1, v7
	v_xor_b32_e32 v7, s0, v7
	v_and_b32_e32 v2, v1, v2
	v_and_b32_e32 v1, v8, v7
	v_mbcnt_lo_u32_b32 v7, v1, 0
	v_cmp_ne_u64_e32 vcc, 0, v[1:2]
	v_mbcnt_hi_u32_b32 v7, v2, v7
	v_cmp_eq_u32_e64 s[0:1], 0, v7
	s_and_b64 s[4:5], vcc, s[0:1]
	v_add_u32_e32 v8, v10, v9
	s_waitcnt lgkmcnt(0)
	s_barrier
	; wave barrier
	s_and_saveexec_b64 s[0:1], s[4:5]
; %bb.1:
	v_bcnt_u32_b32 v1, v1, 0
	v_bcnt_u32_b32 v1, v2, v1
	ds_write_b32 v8, v1 offset:16
; %bb.2:
	s_or_b64 exec, exec, s[0:1]
	; wave barrier
	s_waitcnt lgkmcnt(0)
	s_barrier
	ds_read_b32 v1, v3 offset:16
	v_and_b32_e32 v2, 15, v5
	v_cmp_ne_u32_e32 vcc, 0, v2
	v_min_u32_e32 v6, 0xc0, v6
	v_or_b32_e32 v6, 63, v6
	s_waitcnt lgkmcnt(0)
	v_mov_b32_dpp v9, v1 row_shr:1 row_mask:0xf bank_mask:0xf
	v_cndmask_b32_e32 v9, 0, v9, vcc
	v_add_u32_e32 v1, v9, v1
	v_cmp_lt_u32_e32 vcc, 1, v2
	s_nop 0
	v_mov_b32_dpp v9, v1 row_shr:2 row_mask:0xf bank_mask:0xf
	v_cndmask_b32_e32 v9, 0, v9, vcc
	v_add_u32_e32 v1, v1, v9
	v_cmp_lt_u32_e32 vcc, 3, v2
	s_nop 0
	;; [unrolled: 5-line block ×3, first 2 shown]
	v_mov_b32_dpp v9, v1 row_shr:8 row_mask:0xf bank_mask:0xf
	v_cndmask_b32_e32 v2, 0, v9, vcc
	v_add_u32_e32 v1, v1, v2
	v_bfe_i32 v9, v5, 4, 1
	v_cmp_lt_u32_e32 vcc, 31, v5
	v_mov_b32_dpp v2, v1 row_bcast:15 row_mask:0xf bank_mask:0xf
	v_and_b32_e32 v2, v9, v2
	v_add_u32_e32 v1, v1, v2
	s_nop 1
	v_mov_b32_dpp v2, v1 row_bcast:31 row_mask:0xf bank_mask:0xf
	v_cndmask_b32_e32 v2, 0, v2, vcc
	v_add_u32_e32 v1, v1, v2
	v_lshrrev_b32_e32 v2, 6, v0
	v_cmp_eq_u32_e32 vcc, v0, v6
	s_and_saveexec_b64 s[0:1], vcc
; %bb.3:
	v_lshlrev_b32_e32 v6, 2, v2
	ds_write_b32 v6, v1
; %bb.4:
	s_or_b64 exec, exec, s[0:1]
	v_cmp_gt_u32_e32 vcc, 4, v0
	s_waitcnt lgkmcnt(0)
	s_barrier
	s_and_saveexec_b64 s[0:1], vcc
	s_cbranch_execz .LBB71_6
; %bb.5:
	ds_read_b32 v6, v3
	v_and_b32_e32 v9, 3, v5
	v_cmp_ne_u32_e32 vcc, 0, v9
	s_waitcnt lgkmcnt(0)
	v_mov_b32_dpp v10, v6 row_shr:1 row_mask:0xf bank_mask:0xf
	v_cndmask_b32_e32 v10, 0, v10, vcc
	v_add_u32_e32 v6, v10, v6
	v_cmp_lt_u32_e32 vcc, 1, v9
	s_nop 0
	v_mov_b32_dpp v10, v6 row_shr:2 row_mask:0xf bank_mask:0xf
	v_cndmask_b32_e32 v9, 0, v10, vcc
	v_add_u32_e32 v6, v6, v9
	ds_write_b32 v3, v6
.LBB71_6:
	s_or_b64 exec, exec, s[0:1]
	v_cmp_lt_u32_e32 vcc, 63, v0
	v_mov_b32_e32 v0, 0
	s_waitcnt lgkmcnt(0)
	s_barrier
	s_and_saveexec_b64 s[0:1], vcc
; %bb.7:
	v_lshl_add_u32 v0, v2, 2, -4
	ds_read_b32 v0, v0
; %bb.8:
	s_or_b64 exec, exec, s[0:1]
	v_subrev_co_u32_e32 v2, vcc, 1, v5
	v_and_b32_e32 v6, 64, v5
	v_cmp_lt_i32_e64 s[0:1], v2, v6
	v_cndmask_b32_e64 v2, v2, v5, s[0:1]
	s_waitcnt lgkmcnt(0)
	v_add_u32_e32 v1, v0, v1
	v_lshlrev_b32_e32 v2, 2, v2
	ds_bpermute_b32 v1, v2, v1
	s_add_u32 s0, s2, s6
	s_addc_u32 s1, s3, s7
	s_waitcnt lgkmcnt(0)
	v_cndmask_b32_e32 v0, v1, v0, vcc
	ds_write_b32 v3, v0 offset:16
	s_waitcnt lgkmcnt(0)
	s_barrier
	ds_read_b32 v0, v8 offset:16
	s_waitcnt lgkmcnt(0)
	s_barrier
	v_add_u32_e32 v0, v0, v7
	ds_write_b32 v4, v0
	; wave barrier
	ds_read_b32 v0, v4
	s_waitcnt lgkmcnt(0)
	global_store_dword v3, v0, s[0:1]
	s_endpgm
	.section	.rodata,"a",@progbits
	.p2align	6, 0x0
	.amdhsa_kernel _Z11rank_kernelILj256ELj1ELj4ELb0EL18RadixRankAlgorithm2EfEvPKT4_Pijj
		.amdhsa_group_segment_fixed_size 1040
		.amdhsa_private_segment_fixed_size 0
		.amdhsa_kernarg_size 280
		.amdhsa_user_sgpr_count 6
		.amdhsa_user_sgpr_private_segment_buffer 1
		.amdhsa_user_sgpr_dispatch_ptr 0
		.amdhsa_user_sgpr_queue_ptr 0
		.amdhsa_user_sgpr_kernarg_segment_ptr 1
		.amdhsa_user_sgpr_dispatch_id 0
		.amdhsa_user_sgpr_flat_scratch_init 0
		.amdhsa_user_sgpr_private_segment_size 0
		.amdhsa_uses_dynamic_stack 0
		.amdhsa_system_sgpr_private_segment_wavefront_offset 0
		.amdhsa_system_sgpr_workgroup_id_x 1
		.amdhsa_system_sgpr_workgroup_id_y 0
		.amdhsa_system_sgpr_workgroup_id_z 0
		.amdhsa_system_sgpr_workgroup_info 0
		.amdhsa_system_vgpr_workitem_id 2
		.amdhsa_next_free_vgpr 14
		.amdhsa_next_free_sgpr 11
		.amdhsa_reserve_vcc 1
		.amdhsa_reserve_flat_scratch 0
		.amdhsa_float_round_mode_32 0
		.amdhsa_float_round_mode_16_64 0
		.amdhsa_float_denorm_mode_32 3
		.amdhsa_float_denorm_mode_16_64 3
		.amdhsa_dx10_clamp 1
		.amdhsa_ieee_mode 1
		.amdhsa_fp16_overflow 0
		.amdhsa_exception_fp_ieee_invalid_op 0
		.amdhsa_exception_fp_denorm_src 0
		.amdhsa_exception_fp_ieee_div_zero 0
		.amdhsa_exception_fp_ieee_overflow 0
		.amdhsa_exception_fp_ieee_underflow 0
		.amdhsa_exception_fp_ieee_inexact 0
		.amdhsa_exception_int_div_zero 0
	.end_amdhsa_kernel
	.section	.text._Z11rank_kernelILj256ELj1ELj4ELb0EL18RadixRankAlgorithm2EfEvPKT4_Pijj,"axG",@progbits,_Z11rank_kernelILj256ELj1ELj4ELb0EL18RadixRankAlgorithm2EfEvPKT4_Pijj,comdat
.Lfunc_end71:
	.size	_Z11rank_kernelILj256ELj1ELj4ELb0EL18RadixRankAlgorithm2EfEvPKT4_Pijj, .Lfunc_end71-_Z11rank_kernelILj256ELj1ELj4ELb0EL18RadixRankAlgorithm2EfEvPKT4_Pijj
                                        ; -- End function
	.set _Z11rank_kernelILj256ELj1ELj4ELb0EL18RadixRankAlgorithm2EfEvPKT4_Pijj.num_vgpr, 14
	.set _Z11rank_kernelILj256ELj1ELj4ELb0EL18RadixRankAlgorithm2EfEvPKT4_Pijj.num_agpr, 0
	.set _Z11rank_kernelILj256ELj1ELj4ELb0EL18RadixRankAlgorithm2EfEvPKT4_Pijj.numbered_sgpr, 11
	.set _Z11rank_kernelILj256ELj1ELj4ELb0EL18RadixRankAlgorithm2EfEvPKT4_Pijj.num_named_barrier, 0
	.set _Z11rank_kernelILj256ELj1ELj4ELb0EL18RadixRankAlgorithm2EfEvPKT4_Pijj.private_seg_size, 0
	.set _Z11rank_kernelILj256ELj1ELj4ELb0EL18RadixRankAlgorithm2EfEvPKT4_Pijj.uses_vcc, 1
	.set _Z11rank_kernelILj256ELj1ELj4ELb0EL18RadixRankAlgorithm2EfEvPKT4_Pijj.uses_flat_scratch, 0
	.set _Z11rank_kernelILj256ELj1ELj4ELb0EL18RadixRankAlgorithm2EfEvPKT4_Pijj.has_dyn_sized_stack, 0
	.set _Z11rank_kernelILj256ELj1ELj4ELb0EL18RadixRankAlgorithm2EfEvPKT4_Pijj.has_recursion, 0
	.set _Z11rank_kernelILj256ELj1ELj4ELb0EL18RadixRankAlgorithm2EfEvPKT4_Pijj.has_indirect_call, 0
	.section	.AMDGPU.csdata,"",@progbits
; Kernel info:
; codeLenInByte = 936
; TotalNumSgprs: 15
; NumVgprs: 14
; ScratchSize: 0
; MemoryBound: 0
; FloatMode: 240
; IeeeMode: 1
; LDSByteSize: 1040 bytes/workgroup (compile time only)
; SGPRBlocks: 1
; VGPRBlocks: 3
; NumSGPRsForWavesPerEU: 15
; NumVGPRsForWavesPerEU: 14
; Occupancy: 10
; WaveLimiterHint : 0
; COMPUTE_PGM_RSRC2:SCRATCH_EN: 0
; COMPUTE_PGM_RSRC2:USER_SGPR: 6
; COMPUTE_PGM_RSRC2:TRAP_HANDLER: 0
; COMPUTE_PGM_RSRC2:TGID_X_EN: 1
; COMPUTE_PGM_RSRC2:TGID_Y_EN: 0
; COMPUTE_PGM_RSRC2:TGID_Z_EN: 0
; COMPUTE_PGM_RSRC2:TIDIG_COMP_CNT: 2
	.section	.text._Z11rank_kernelILj128ELj1ELj4ELb0EL18RadixRankAlgorithm2E12hip_bfloat16EvPKT4_Pijj,"axG",@progbits,_Z11rank_kernelILj128ELj1ELj4ELb0EL18RadixRankAlgorithm2E12hip_bfloat16EvPKT4_Pijj,comdat
	.protected	_Z11rank_kernelILj128ELj1ELj4ELb0EL18RadixRankAlgorithm2E12hip_bfloat16EvPKT4_Pijj ; -- Begin function _Z11rank_kernelILj128ELj1ELj4ELb0EL18RadixRankAlgorithm2E12hip_bfloat16EvPKT4_Pijj
	.globl	_Z11rank_kernelILj128ELj1ELj4ELb0EL18RadixRankAlgorithm2E12hip_bfloat16EvPKT4_Pijj
	.p2align	8
	.type	_Z11rank_kernelILj128ELj1ELj4ELb0EL18RadixRankAlgorithm2E12hip_bfloat16EvPKT4_Pijj,@function
_Z11rank_kernelILj128ELj1ELj4ELb0EL18RadixRankAlgorithm2E12hip_bfloat16EvPKT4_Pijj: ; @_Z11rank_kernelILj128ELj1ELj4ELb0EL18RadixRankAlgorithm2E12hip_bfloat16EvPKT4_Pijj
; %bb.0:
	s_load_dwordx4 s[0:3], s[4:5], 0x0
	s_load_dwordx2 s[8:9], s[4:5], 0x10
	s_lshl_b32 s6, s6, 7
	s_mov_b32 s7, 0
	s_lshl_b64 s[10:11], s[6:7], 1
	s_waitcnt lgkmcnt(0)
	s_add_u32 s0, s0, s10
	s_addc_u32 s1, s1, s11
	v_lshlrev_b32_e32 v3, 1, v0
	global_load_ushort v9, v3, s[0:1]
	s_load_dword s1, s[4:5], 0x24
	v_mbcnt_lo_u32_b32 v3, -1, 0
	v_mbcnt_hi_u32_b32 v6, -1, v3
	v_and_b32_e32 v7, 64, v0
	v_add_u32_e32 v4, v6, v7
	s_waitcnt lgkmcnt(0)
	s_lshr_b32 s4, s1, 16
	s_and_b32 s1, s1, 0xffff
	v_mad_u32_u24 v1, v2, s4, v1
	v_mad_u32_u24 v1, v1, s1, v0
	v_lshlrev_b32_e32 v5, 1, v4
	v_lshrrev_b32_e32 v1, 4, v1
	v_and_b32_e32 v11, 0xffffffc, v1
	v_mov_b32_e32 v10, 0xffff8000
	s_movk_i32 s0, 0x7fff
	s_and_b32 s5, s9, 31
	s_and_b32 s8, s8, 31
	s_add_i32 s8, s8, s5
	s_sub_i32 s4, 32, s5
	s_sub_i32 s1, 32, s8
	s_cmp_lg_u32 s5, 0
	v_mov_b32_e32 v8, 0
	v_lshlrev_b32_e32 v3, 2, v0
	s_waitcnt vmcnt(0)
	ds_write_b16 v5, v9
	; wave barrier
	ds_read_u16 v1, v5
	s_waitcnt lgkmcnt(0)
	s_barrier
	ds_write_b32 v3, v8 offset:8
	v_cmp_lt_i16_e32 vcc, -1, v1
	v_cndmask_b32_e32 v2, -1, v10, vcc
	v_xor_b32_e32 v1, v2, v1
	v_cmp_ne_u16_e32 vcc, s0, v1
	v_cndmask_b32_e32 v1, v10, v1, vcc
	v_lshlrev_b32_sdwa v1, s1, v1 dst_sel:DWORD dst_unused:UNUSED_PAD src0_sel:DWORD src1_sel:WORD_0
	v_bfe_u32 v1, v1, s4, 16
	s_cselect_b64 vcc, -1, 0
	v_cndmask_b32_e32 v1, 0, v1, vcc
	v_and_b32_e32 v2, 1, v1
	v_add_co_u32_e32 v12, vcc, -1, v2
	v_lshlrev_b32_e32 v9, 30, v1
	v_addc_co_u32_e64 v13, s[0:1], 0, -1, vcc
	v_cmp_ne_u32_e32 vcc, 0, v2
	v_cmp_gt_i64_e64 s[0:1], 0, v[8:9]
	v_not_b32_e32 v2, v9
	v_lshlrev_b32_e32 v9, 29, v1
	v_xor_b32_e32 v13, vcc_hi, v13
	v_xor_b32_e32 v12, vcc_lo, v12
	v_ashrrev_i32_e32 v2, 31, v2
	v_cmp_gt_i64_e32 vcc, 0, v[8:9]
	v_not_b32_e32 v14, v9
	v_lshlrev_b32_e32 v9, 28, v1
	v_mul_u32_u24_e32 v10, 12, v1
	v_and_b32_e32 v1, exec_hi, v13
	v_and_b32_e32 v12, exec_lo, v12
	v_xor_b32_e32 v13, s1, v2
	v_xor_b32_e32 v2, s0, v2
	v_ashrrev_i32_e32 v14, 31, v14
	v_cmp_gt_i64_e64 s[0:1], 0, v[8:9]
	v_not_b32_e32 v8, v9
	v_and_b32_e32 v1, v1, v13
	v_and_b32_e32 v2, v12, v2
	v_xor_b32_e32 v9, vcc_hi, v14
	v_xor_b32_e32 v12, vcc_lo, v14
	v_ashrrev_i32_e32 v8, 31, v8
	v_and_b32_e32 v1, v1, v9
	v_and_b32_e32 v9, v2, v12
	v_xor_b32_e32 v2, s1, v8
	v_xor_b32_e32 v8, s0, v8
	v_and_b32_e32 v2, v1, v2
	v_and_b32_e32 v1, v9, v8
	v_mbcnt_lo_u32_b32 v8, v1, 0
	v_cmp_ne_u64_e32 vcc, 0, v[1:2]
	v_mbcnt_hi_u32_b32 v8, v2, v8
	v_cmp_eq_u32_e64 s[0:1], 0, v8
	s_and_b64 s[4:5], vcc, s[0:1]
	v_add_u32_e32 v9, v11, v10
	s_waitcnt lgkmcnt(0)
	s_barrier
	; wave barrier
	s_and_saveexec_b64 s[0:1], s[4:5]
; %bb.1:
	v_bcnt_u32_b32 v1, v1, 0
	v_bcnt_u32_b32 v1, v2, v1
	ds_write_b32 v9, v1 offset:8
; %bb.2:
	s_or_b64 exec, exec, s[0:1]
	; wave barrier
	s_waitcnt lgkmcnt(0)
	s_barrier
	ds_read_b32 v1, v3 offset:8
	v_and_b32_e32 v2, 15, v6
	v_cmp_ne_u32_e32 vcc, 0, v2
	v_min_u32_e32 v7, 64, v7
	v_or_b32_e32 v7, 63, v7
	s_waitcnt lgkmcnt(0)
	v_mov_b32_dpp v10, v1 row_shr:1 row_mask:0xf bank_mask:0xf
	v_cndmask_b32_e32 v10, 0, v10, vcc
	v_add_u32_e32 v1, v10, v1
	v_cmp_lt_u32_e32 vcc, 1, v2
	s_nop 0
	v_mov_b32_dpp v10, v1 row_shr:2 row_mask:0xf bank_mask:0xf
	v_cndmask_b32_e32 v10, 0, v10, vcc
	v_add_u32_e32 v1, v1, v10
	v_cmp_lt_u32_e32 vcc, 3, v2
	s_nop 0
	;; [unrolled: 5-line block ×3, first 2 shown]
	v_mov_b32_dpp v10, v1 row_shr:8 row_mask:0xf bank_mask:0xf
	v_cndmask_b32_e32 v2, 0, v10, vcc
	v_add_u32_e32 v1, v1, v2
	v_bfe_i32 v10, v6, 4, 1
	v_cmp_lt_u32_e32 vcc, 31, v6
	v_mov_b32_dpp v2, v1 row_bcast:15 row_mask:0xf bank_mask:0xf
	v_and_b32_e32 v2, v10, v2
	v_add_u32_e32 v1, v1, v2
	s_nop 1
	v_mov_b32_dpp v2, v1 row_bcast:31 row_mask:0xf bank_mask:0xf
	v_cndmask_b32_e32 v2, 0, v2, vcc
	v_add_u32_e32 v1, v1, v2
	v_lshrrev_b32_e32 v2, 6, v0
	v_cmp_eq_u32_e32 vcc, v0, v7
	s_and_saveexec_b64 s[0:1], vcc
; %bb.3:
	v_lshlrev_b32_e32 v7, 2, v2
	ds_write_b32 v7, v1
; %bb.4:
	s_or_b64 exec, exec, s[0:1]
	v_cmp_gt_u32_e32 vcc, 2, v0
	s_waitcnt lgkmcnt(0)
	s_barrier
	s_and_saveexec_b64 s[0:1], vcc
	s_cbranch_execz .LBB72_6
; %bb.5:
	ds_read_b32 v7, v3
	v_bfe_i32 v10, v6, 0, 1
	s_waitcnt lgkmcnt(0)
	v_mov_b32_dpp v11, v7 row_shr:1 row_mask:0xf bank_mask:0xf
	v_and_b32_e32 v10, v10, v11
	v_add_u32_e32 v7, v10, v7
	ds_write_b32 v3, v7
.LBB72_6:
	s_or_b64 exec, exec, s[0:1]
	v_cmp_lt_u32_e32 vcc, 63, v0
	v_mov_b32_e32 v0, 0
	s_waitcnt lgkmcnt(0)
	s_barrier
	s_and_saveexec_b64 s[0:1], vcc
; %bb.7:
	v_lshl_add_u32 v0, v2, 2, -4
	ds_read_b32 v0, v0
; %bb.8:
	s_or_b64 exec, exec, s[0:1]
	v_subrev_co_u32_e32 v2, vcc, 1, v6
	v_and_b32_e32 v7, 64, v6
	v_cmp_lt_i32_e64 s[0:1], v2, v7
	v_cndmask_b32_e64 v2, v2, v6, s[0:1]
	s_waitcnt lgkmcnt(0)
	v_add_u32_e32 v1, v0, v1
	v_lshlrev_b32_e32 v2, 2, v2
	ds_bpermute_b32 v1, v2, v1
	s_lshl_b64 s[0:1], s[6:7], 2
	s_add_u32 s0, s2, s0
	s_addc_u32 s1, s3, s1
	s_waitcnt lgkmcnt(0)
	v_cndmask_b32_e32 v0, v1, v0, vcc
	ds_write_b32 v3, v0 offset:8
	s_waitcnt lgkmcnt(0)
	s_barrier
	ds_read_b32 v0, v9 offset:8
	v_lshl_add_u32 v1, v4, 1, v5
	s_waitcnt lgkmcnt(0)
	s_barrier
	v_add_u32_e32 v0, v0, v8
	ds_write_b32 v1, v0
	; wave barrier
	ds_read_b32 v0, v1
	s_waitcnt lgkmcnt(0)
	global_store_dword v3, v0, s[0:1]
	s_endpgm
	.section	.rodata,"a",@progbits
	.p2align	6, 0x0
	.amdhsa_kernel _Z11rank_kernelILj128ELj1ELj4ELb0EL18RadixRankAlgorithm2E12hip_bfloat16EvPKT4_Pijj
		.amdhsa_group_segment_fixed_size 528
		.amdhsa_private_segment_fixed_size 0
		.amdhsa_kernarg_size 280
		.amdhsa_user_sgpr_count 6
		.amdhsa_user_sgpr_private_segment_buffer 1
		.amdhsa_user_sgpr_dispatch_ptr 0
		.amdhsa_user_sgpr_queue_ptr 0
		.amdhsa_user_sgpr_kernarg_segment_ptr 1
		.amdhsa_user_sgpr_dispatch_id 0
		.amdhsa_user_sgpr_flat_scratch_init 0
		.amdhsa_user_sgpr_private_segment_size 0
		.amdhsa_uses_dynamic_stack 0
		.amdhsa_system_sgpr_private_segment_wavefront_offset 0
		.amdhsa_system_sgpr_workgroup_id_x 1
		.amdhsa_system_sgpr_workgroup_id_y 0
		.amdhsa_system_sgpr_workgroup_id_z 0
		.amdhsa_system_sgpr_workgroup_info 0
		.amdhsa_system_vgpr_workitem_id 2
		.amdhsa_next_free_vgpr 15
		.amdhsa_next_free_sgpr 12
		.amdhsa_reserve_vcc 1
		.amdhsa_reserve_flat_scratch 0
		.amdhsa_float_round_mode_32 0
		.amdhsa_float_round_mode_16_64 0
		.amdhsa_float_denorm_mode_32 3
		.amdhsa_float_denorm_mode_16_64 3
		.amdhsa_dx10_clamp 1
		.amdhsa_ieee_mode 1
		.amdhsa_fp16_overflow 0
		.amdhsa_exception_fp_ieee_invalid_op 0
		.amdhsa_exception_fp_denorm_src 0
		.amdhsa_exception_fp_ieee_div_zero 0
		.amdhsa_exception_fp_ieee_overflow 0
		.amdhsa_exception_fp_ieee_underflow 0
		.amdhsa_exception_fp_ieee_inexact 0
		.amdhsa_exception_int_div_zero 0
	.end_amdhsa_kernel
	.section	.text._Z11rank_kernelILj128ELj1ELj4ELb0EL18RadixRankAlgorithm2E12hip_bfloat16EvPKT4_Pijj,"axG",@progbits,_Z11rank_kernelILj128ELj1ELj4ELb0EL18RadixRankAlgorithm2E12hip_bfloat16EvPKT4_Pijj,comdat
.Lfunc_end72:
	.size	_Z11rank_kernelILj128ELj1ELj4ELb0EL18RadixRankAlgorithm2E12hip_bfloat16EvPKT4_Pijj, .Lfunc_end72-_Z11rank_kernelILj128ELj1ELj4ELb0EL18RadixRankAlgorithm2E12hip_bfloat16EvPKT4_Pijj
                                        ; -- End function
	.set _Z11rank_kernelILj128ELj1ELj4ELb0EL18RadixRankAlgorithm2E12hip_bfloat16EvPKT4_Pijj.num_vgpr, 15
	.set _Z11rank_kernelILj128ELj1ELj4ELb0EL18RadixRankAlgorithm2E12hip_bfloat16EvPKT4_Pijj.num_agpr, 0
	.set _Z11rank_kernelILj128ELj1ELj4ELb0EL18RadixRankAlgorithm2E12hip_bfloat16EvPKT4_Pijj.numbered_sgpr, 12
	.set _Z11rank_kernelILj128ELj1ELj4ELb0EL18RadixRankAlgorithm2E12hip_bfloat16EvPKT4_Pijj.num_named_barrier, 0
	.set _Z11rank_kernelILj128ELj1ELj4ELb0EL18RadixRankAlgorithm2E12hip_bfloat16EvPKT4_Pijj.private_seg_size, 0
	.set _Z11rank_kernelILj128ELj1ELj4ELb0EL18RadixRankAlgorithm2E12hip_bfloat16EvPKT4_Pijj.uses_vcc, 1
	.set _Z11rank_kernelILj128ELj1ELj4ELb0EL18RadixRankAlgorithm2E12hip_bfloat16EvPKT4_Pijj.uses_flat_scratch, 0
	.set _Z11rank_kernelILj128ELj1ELj4ELb0EL18RadixRankAlgorithm2E12hip_bfloat16EvPKT4_Pijj.has_dyn_sized_stack, 0
	.set _Z11rank_kernelILj128ELj1ELj4ELb0EL18RadixRankAlgorithm2E12hip_bfloat16EvPKT4_Pijj.has_recursion, 0
	.set _Z11rank_kernelILj128ELj1ELj4ELb0EL18RadixRankAlgorithm2E12hip_bfloat16EvPKT4_Pijj.has_indirect_call, 0
	.section	.AMDGPU.csdata,"",@progbits
; Kernel info:
; codeLenInByte = 924
; TotalNumSgprs: 16
; NumVgprs: 15
; ScratchSize: 0
; MemoryBound: 0
; FloatMode: 240
; IeeeMode: 1
; LDSByteSize: 528 bytes/workgroup (compile time only)
; SGPRBlocks: 1
; VGPRBlocks: 3
; NumSGPRsForWavesPerEU: 16
; NumVGPRsForWavesPerEU: 15
; Occupancy: 10
; WaveLimiterHint : 0
; COMPUTE_PGM_RSRC2:SCRATCH_EN: 0
; COMPUTE_PGM_RSRC2:USER_SGPR: 6
; COMPUTE_PGM_RSRC2:TRAP_HANDLER: 0
; COMPUTE_PGM_RSRC2:TGID_X_EN: 1
; COMPUTE_PGM_RSRC2:TGID_Y_EN: 0
; COMPUTE_PGM_RSRC2:TGID_Z_EN: 0
; COMPUTE_PGM_RSRC2:TIDIG_COMP_CNT: 2
	.section	.text._Z11rank_kernelILj128ELj1ELj4ELb0EL18RadixRankAlgorithm2E6__halfEvPKT4_Pijj,"axG",@progbits,_Z11rank_kernelILj128ELj1ELj4ELb0EL18RadixRankAlgorithm2E6__halfEvPKT4_Pijj,comdat
	.protected	_Z11rank_kernelILj128ELj1ELj4ELb0EL18RadixRankAlgorithm2E6__halfEvPKT4_Pijj ; -- Begin function _Z11rank_kernelILj128ELj1ELj4ELb0EL18RadixRankAlgorithm2E6__halfEvPKT4_Pijj
	.globl	_Z11rank_kernelILj128ELj1ELj4ELb0EL18RadixRankAlgorithm2E6__halfEvPKT4_Pijj
	.p2align	8
	.type	_Z11rank_kernelILj128ELj1ELj4ELb0EL18RadixRankAlgorithm2E6__halfEvPKT4_Pijj,@function
_Z11rank_kernelILj128ELj1ELj4ELb0EL18RadixRankAlgorithm2E6__halfEvPKT4_Pijj: ; @_Z11rank_kernelILj128ELj1ELj4ELb0EL18RadixRankAlgorithm2E6__halfEvPKT4_Pijj
; %bb.0:
	s_load_dwordx4 s[0:3], s[4:5], 0x0
	s_load_dwordx2 s[8:9], s[4:5], 0x10
	s_lshl_b32 s6, s6, 7
	s_mov_b32 s7, 0
	s_lshl_b64 s[10:11], s[6:7], 1
	s_waitcnt lgkmcnt(0)
	s_add_u32 s0, s0, s10
	s_addc_u32 s1, s1, s11
	v_lshlrev_b32_e32 v3, 1, v0
	global_load_ushort v9, v3, s[0:1]
	s_load_dword s1, s[4:5], 0x24
	v_mbcnt_lo_u32_b32 v3, -1, 0
	v_mbcnt_hi_u32_b32 v6, -1, v3
	v_and_b32_e32 v7, 64, v0
	v_add_u32_e32 v4, v6, v7
	s_waitcnt lgkmcnt(0)
	s_lshr_b32 s4, s1, 16
	s_and_b32 s1, s1, 0xffff
	v_mad_u32_u24 v1, v2, s4, v1
	v_mad_u32_u24 v1, v1, s1, v0
	v_lshlrev_b32_e32 v5, 1, v4
	v_lshrrev_b32_e32 v1, 4, v1
	v_and_b32_e32 v11, 0xffffffc, v1
	v_mov_b32_e32 v10, 0xffff8000
	s_movk_i32 s0, 0x7fff
	s_and_b32 s5, s9, 31
	s_and_b32 s8, s8, 31
	s_add_i32 s8, s8, s5
	s_sub_i32 s4, 32, s5
	s_sub_i32 s1, 32, s8
	s_cmp_lg_u32 s5, 0
	v_mov_b32_e32 v8, 0
	v_lshlrev_b32_e32 v3, 2, v0
	s_waitcnt vmcnt(0)
	ds_write_b16 v5, v9
	; wave barrier
	ds_read_u16 v1, v5
	s_waitcnt lgkmcnt(0)
	s_barrier
	ds_write_b32 v3, v8 offset:8
	v_cmp_lt_i16_e32 vcc, -1, v1
	v_cndmask_b32_e32 v2, -1, v10, vcc
	v_xor_b32_e32 v1, v2, v1
	v_cmp_ne_u16_e32 vcc, s0, v1
	v_cndmask_b32_e32 v1, v10, v1, vcc
	v_lshlrev_b32_sdwa v1, s1, v1 dst_sel:DWORD dst_unused:UNUSED_PAD src0_sel:DWORD src1_sel:WORD_0
	v_bfe_u32 v1, v1, s4, 16
	s_cselect_b64 vcc, -1, 0
	v_cndmask_b32_e32 v1, 0, v1, vcc
	v_and_b32_e32 v2, 1, v1
	v_add_co_u32_e32 v12, vcc, -1, v2
	v_lshlrev_b32_e32 v9, 30, v1
	v_addc_co_u32_e64 v13, s[0:1], 0, -1, vcc
	v_cmp_ne_u32_e32 vcc, 0, v2
	v_cmp_gt_i64_e64 s[0:1], 0, v[8:9]
	v_not_b32_e32 v2, v9
	v_lshlrev_b32_e32 v9, 29, v1
	v_xor_b32_e32 v13, vcc_hi, v13
	v_xor_b32_e32 v12, vcc_lo, v12
	v_ashrrev_i32_e32 v2, 31, v2
	v_cmp_gt_i64_e32 vcc, 0, v[8:9]
	v_not_b32_e32 v14, v9
	v_lshlrev_b32_e32 v9, 28, v1
	v_mul_u32_u24_e32 v10, 12, v1
	v_and_b32_e32 v1, exec_hi, v13
	v_and_b32_e32 v12, exec_lo, v12
	v_xor_b32_e32 v13, s1, v2
	v_xor_b32_e32 v2, s0, v2
	v_ashrrev_i32_e32 v14, 31, v14
	v_cmp_gt_i64_e64 s[0:1], 0, v[8:9]
	v_not_b32_e32 v8, v9
	v_and_b32_e32 v1, v1, v13
	v_and_b32_e32 v2, v12, v2
	v_xor_b32_e32 v9, vcc_hi, v14
	v_xor_b32_e32 v12, vcc_lo, v14
	v_ashrrev_i32_e32 v8, 31, v8
	v_and_b32_e32 v1, v1, v9
	v_and_b32_e32 v9, v2, v12
	v_xor_b32_e32 v2, s1, v8
	v_xor_b32_e32 v8, s0, v8
	v_and_b32_e32 v2, v1, v2
	v_and_b32_e32 v1, v9, v8
	v_mbcnt_lo_u32_b32 v8, v1, 0
	v_cmp_ne_u64_e32 vcc, 0, v[1:2]
	v_mbcnt_hi_u32_b32 v8, v2, v8
	v_cmp_eq_u32_e64 s[0:1], 0, v8
	s_and_b64 s[4:5], vcc, s[0:1]
	v_add_u32_e32 v9, v11, v10
	s_waitcnt lgkmcnt(0)
	s_barrier
	; wave barrier
	s_and_saveexec_b64 s[0:1], s[4:5]
; %bb.1:
	v_bcnt_u32_b32 v1, v1, 0
	v_bcnt_u32_b32 v1, v2, v1
	ds_write_b32 v9, v1 offset:8
; %bb.2:
	s_or_b64 exec, exec, s[0:1]
	; wave barrier
	s_waitcnt lgkmcnt(0)
	s_barrier
	ds_read_b32 v1, v3 offset:8
	v_and_b32_e32 v2, 15, v6
	v_cmp_ne_u32_e32 vcc, 0, v2
	v_min_u32_e32 v7, 64, v7
	v_or_b32_e32 v7, 63, v7
	s_waitcnt lgkmcnt(0)
	v_mov_b32_dpp v10, v1 row_shr:1 row_mask:0xf bank_mask:0xf
	v_cndmask_b32_e32 v10, 0, v10, vcc
	v_add_u32_e32 v1, v10, v1
	v_cmp_lt_u32_e32 vcc, 1, v2
	s_nop 0
	v_mov_b32_dpp v10, v1 row_shr:2 row_mask:0xf bank_mask:0xf
	v_cndmask_b32_e32 v10, 0, v10, vcc
	v_add_u32_e32 v1, v1, v10
	v_cmp_lt_u32_e32 vcc, 3, v2
	s_nop 0
	;; [unrolled: 5-line block ×3, first 2 shown]
	v_mov_b32_dpp v10, v1 row_shr:8 row_mask:0xf bank_mask:0xf
	v_cndmask_b32_e32 v2, 0, v10, vcc
	v_add_u32_e32 v1, v1, v2
	v_bfe_i32 v10, v6, 4, 1
	v_cmp_lt_u32_e32 vcc, 31, v6
	v_mov_b32_dpp v2, v1 row_bcast:15 row_mask:0xf bank_mask:0xf
	v_and_b32_e32 v2, v10, v2
	v_add_u32_e32 v1, v1, v2
	s_nop 1
	v_mov_b32_dpp v2, v1 row_bcast:31 row_mask:0xf bank_mask:0xf
	v_cndmask_b32_e32 v2, 0, v2, vcc
	v_add_u32_e32 v1, v1, v2
	v_lshrrev_b32_e32 v2, 6, v0
	v_cmp_eq_u32_e32 vcc, v0, v7
	s_and_saveexec_b64 s[0:1], vcc
; %bb.3:
	v_lshlrev_b32_e32 v7, 2, v2
	ds_write_b32 v7, v1
; %bb.4:
	s_or_b64 exec, exec, s[0:1]
	v_cmp_gt_u32_e32 vcc, 2, v0
	s_waitcnt lgkmcnt(0)
	s_barrier
	s_and_saveexec_b64 s[0:1], vcc
	s_cbranch_execz .LBB73_6
; %bb.5:
	ds_read_b32 v7, v3
	v_bfe_i32 v10, v6, 0, 1
	s_waitcnt lgkmcnt(0)
	v_mov_b32_dpp v11, v7 row_shr:1 row_mask:0xf bank_mask:0xf
	v_and_b32_e32 v10, v10, v11
	v_add_u32_e32 v7, v10, v7
	ds_write_b32 v3, v7
.LBB73_6:
	s_or_b64 exec, exec, s[0:1]
	v_cmp_lt_u32_e32 vcc, 63, v0
	v_mov_b32_e32 v0, 0
	s_waitcnt lgkmcnt(0)
	s_barrier
	s_and_saveexec_b64 s[0:1], vcc
; %bb.7:
	v_lshl_add_u32 v0, v2, 2, -4
	ds_read_b32 v0, v0
; %bb.8:
	s_or_b64 exec, exec, s[0:1]
	v_subrev_co_u32_e32 v2, vcc, 1, v6
	v_and_b32_e32 v7, 64, v6
	v_cmp_lt_i32_e64 s[0:1], v2, v7
	v_cndmask_b32_e64 v2, v2, v6, s[0:1]
	s_waitcnt lgkmcnt(0)
	v_add_u32_e32 v1, v0, v1
	v_lshlrev_b32_e32 v2, 2, v2
	ds_bpermute_b32 v1, v2, v1
	s_lshl_b64 s[0:1], s[6:7], 2
	s_add_u32 s0, s2, s0
	s_addc_u32 s1, s3, s1
	s_waitcnt lgkmcnt(0)
	v_cndmask_b32_e32 v0, v1, v0, vcc
	ds_write_b32 v3, v0 offset:8
	s_waitcnt lgkmcnt(0)
	s_barrier
	ds_read_b32 v0, v9 offset:8
	v_lshl_add_u32 v1, v4, 1, v5
	s_waitcnt lgkmcnt(0)
	s_barrier
	v_add_u32_e32 v0, v0, v8
	ds_write_b32 v1, v0
	; wave barrier
	ds_read_b32 v0, v1
	s_waitcnt lgkmcnt(0)
	global_store_dword v3, v0, s[0:1]
	s_endpgm
	.section	.rodata,"a",@progbits
	.p2align	6, 0x0
	.amdhsa_kernel _Z11rank_kernelILj128ELj1ELj4ELb0EL18RadixRankAlgorithm2E6__halfEvPKT4_Pijj
		.amdhsa_group_segment_fixed_size 528
		.amdhsa_private_segment_fixed_size 0
		.amdhsa_kernarg_size 280
		.amdhsa_user_sgpr_count 6
		.amdhsa_user_sgpr_private_segment_buffer 1
		.amdhsa_user_sgpr_dispatch_ptr 0
		.amdhsa_user_sgpr_queue_ptr 0
		.amdhsa_user_sgpr_kernarg_segment_ptr 1
		.amdhsa_user_sgpr_dispatch_id 0
		.amdhsa_user_sgpr_flat_scratch_init 0
		.amdhsa_user_sgpr_private_segment_size 0
		.amdhsa_uses_dynamic_stack 0
		.amdhsa_system_sgpr_private_segment_wavefront_offset 0
		.amdhsa_system_sgpr_workgroup_id_x 1
		.amdhsa_system_sgpr_workgroup_id_y 0
		.amdhsa_system_sgpr_workgroup_id_z 0
		.amdhsa_system_sgpr_workgroup_info 0
		.amdhsa_system_vgpr_workitem_id 2
		.amdhsa_next_free_vgpr 15
		.amdhsa_next_free_sgpr 12
		.amdhsa_reserve_vcc 1
		.amdhsa_reserve_flat_scratch 0
		.amdhsa_float_round_mode_32 0
		.amdhsa_float_round_mode_16_64 0
		.amdhsa_float_denorm_mode_32 3
		.amdhsa_float_denorm_mode_16_64 3
		.amdhsa_dx10_clamp 1
		.amdhsa_ieee_mode 1
		.amdhsa_fp16_overflow 0
		.amdhsa_exception_fp_ieee_invalid_op 0
		.amdhsa_exception_fp_denorm_src 0
		.amdhsa_exception_fp_ieee_div_zero 0
		.amdhsa_exception_fp_ieee_overflow 0
		.amdhsa_exception_fp_ieee_underflow 0
		.amdhsa_exception_fp_ieee_inexact 0
		.amdhsa_exception_int_div_zero 0
	.end_amdhsa_kernel
	.section	.text._Z11rank_kernelILj128ELj1ELj4ELb0EL18RadixRankAlgorithm2E6__halfEvPKT4_Pijj,"axG",@progbits,_Z11rank_kernelILj128ELj1ELj4ELb0EL18RadixRankAlgorithm2E6__halfEvPKT4_Pijj,comdat
.Lfunc_end73:
	.size	_Z11rank_kernelILj128ELj1ELj4ELb0EL18RadixRankAlgorithm2E6__halfEvPKT4_Pijj, .Lfunc_end73-_Z11rank_kernelILj128ELj1ELj4ELb0EL18RadixRankAlgorithm2E6__halfEvPKT4_Pijj
                                        ; -- End function
	.set _Z11rank_kernelILj128ELj1ELj4ELb0EL18RadixRankAlgorithm2E6__halfEvPKT4_Pijj.num_vgpr, 15
	.set _Z11rank_kernelILj128ELj1ELj4ELb0EL18RadixRankAlgorithm2E6__halfEvPKT4_Pijj.num_agpr, 0
	.set _Z11rank_kernelILj128ELj1ELj4ELb0EL18RadixRankAlgorithm2E6__halfEvPKT4_Pijj.numbered_sgpr, 12
	.set _Z11rank_kernelILj128ELj1ELj4ELb0EL18RadixRankAlgorithm2E6__halfEvPKT4_Pijj.num_named_barrier, 0
	.set _Z11rank_kernelILj128ELj1ELj4ELb0EL18RadixRankAlgorithm2E6__halfEvPKT4_Pijj.private_seg_size, 0
	.set _Z11rank_kernelILj128ELj1ELj4ELb0EL18RadixRankAlgorithm2E6__halfEvPKT4_Pijj.uses_vcc, 1
	.set _Z11rank_kernelILj128ELj1ELj4ELb0EL18RadixRankAlgorithm2E6__halfEvPKT4_Pijj.uses_flat_scratch, 0
	.set _Z11rank_kernelILj128ELj1ELj4ELb0EL18RadixRankAlgorithm2E6__halfEvPKT4_Pijj.has_dyn_sized_stack, 0
	.set _Z11rank_kernelILj128ELj1ELj4ELb0EL18RadixRankAlgorithm2E6__halfEvPKT4_Pijj.has_recursion, 0
	.set _Z11rank_kernelILj128ELj1ELj4ELb0EL18RadixRankAlgorithm2E6__halfEvPKT4_Pijj.has_indirect_call, 0
	.section	.AMDGPU.csdata,"",@progbits
; Kernel info:
; codeLenInByte = 924
; TotalNumSgprs: 16
; NumVgprs: 15
; ScratchSize: 0
; MemoryBound: 0
; FloatMode: 240
; IeeeMode: 1
; LDSByteSize: 528 bytes/workgroup (compile time only)
; SGPRBlocks: 1
; VGPRBlocks: 3
; NumSGPRsForWavesPerEU: 16
; NumVGPRsForWavesPerEU: 15
; Occupancy: 10
; WaveLimiterHint : 0
; COMPUTE_PGM_RSRC2:SCRATCH_EN: 0
; COMPUTE_PGM_RSRC2:USER_SGPR: 6
; COMPUTE_PGM_RSRC2:TRAP_HANDLER: 0
; COMPUTE_PGM_RSRC2:TGID_X_EN: 1
; COMPUTE_PGM_RSRC2:TGID_Y_EN: 0
; COMPUTE_PGM_RSRC2:TGID_Z_EN: 0
; COMPUTE_PGM_RSRC2:TIDIG_COMP_CNT: 2
	.section	.text._Z11rank_kernelILj64ELj1ELj4ELb0EL18RadixRankAlgorithm2EjEvPKT4_Pijj,"axG",@progbits,_Z11rank_kernelILj64ELj1ELj4ELb0EL18RadixRankAlgorithm2EjEvPKT4_Pijj,comdat
	.protected	_Z11rank_kernelILj64ELj1ELj4ELb0EL18RadixRankAlgorithm2EjEvPKT4_Pijj ; -- Begin function _Z11rank_kernelILj64ELj1ELj4ELb0EL18RadixRankAlgorithm2EjEvPKT4_Pijj
	.globl	_Z11rank_kernelILj64ELj1ELj4ELb0EL18RadixRankAlgorithm2EjEvPKT4_Pijj
	.p2align	8
	.type	_Z11rank_kernelILj64ELj1ELj4ELb0EL18RadixRankAlgorithm2EjEvPKT4_Pijj,@function
_Z11rank_kernelILj64ELj1ELj4ELb0EL18RadixRankAlgorithm2EjEvPKT4_Pijj: ; @_Z11rank_kernelILj64ELj1ELj4ELb0EL18RadixRankAlgorithm2EjEvPKT4_Pijj
; %bb.0:
	s_load_dwordx4 s[0:3], s[4:5], 0x0
	s_load_dwordx2 s[8:9], s[4:5], 0x10
	s_lshl_b32 s6, s6, 6
	s_mov_b32 s7, 0
	s_lshl_b64 s[6:7], s[6:7], 2
	s_waitcnt lgkmcnt(0)
	s_add_u32 s0, s0, s6
	s_addc_u32 s1, s1, s7
	v_lshlrev_b32_e32 v3, 2, v0
	global_load_dword v6, v3, s[0:1]
	s_load_dword s0, s[4:5], 0x24
	v_mbcnt_lo_u32_b32 v4, -1, 0
	v_mbcnt_hi_u32_b32 v5, -1, v4
	v_lshlrev_b32_e32 v4, 2, v5
	s_and_b32 s4, s9, 31
	s_waitcnt lgkmcnt(0)
	s_lshr_b32 s1, s0, 16
	v_mad_u32_u24 v1, v2, s1, v1
	s_and_b32 s5, s8, 31
	s_and_b32 s0, s0, 0xffff
	s_add_i32 s5, s5, s4
	s_sub_i32 s1, 32, s4
	v_mad_u32_u24 v1, v1, s0, v0
	s_sub_i32 s0, 32, s5
	s_cmp_lg_u32 s4, 0
	v_lshrrev_b32_e32 v1, 4, v1
	s_cselect_b64 vcc, -1, 0
	v_and_b32_e32 v1, 0xffffffc, v1
	v_mov_b32_e32 v7, 0
	s_waitcnt vmcnt(0)
	ds_write_b32 v4, v6
	; wave barrier
	ds_read_b32 v2, v4
	s_waitcnt lgkmcnt(0)
	; wave barrier
	ds_write_b32 v3, v7 offset:4
	s_waitcnt lgkmcnt(0)
	v_lshlrev_b32_e32 v2, s0, v2
	v_lshrrev_b32_e32 v2, s1, v2
	v_cndmask_b32_e32 v2, 0, v2, vcc
	v_lshl_add_u32 v6, v2, 2, v1
	v_and_b32_e32 v1, 1, v2
	v_add_co_u32_e32 v9, vcc, -1, v1
	v_lshlrev_b32_e32 v8, 30, v2
	v_addc_co_u32_e64 v10, s[0:1], 0, -1, vcc
	v_cmp_ne_u32_e32 vcc, 0, v1
	v_cmp_gt_i64_e64 s[0:1], 0, v[7:8]
	v_not_b32_e32 v1, v8
	v_lshlrev_b32_e32 v8, 29, v2
	v_xor_b32_e32 v10, vcc_hi, v10
	v_xor_b32_e32 v9, vcc_lo, v9
	v_ashrrev_i32_e32 v1, 31, v1
	v_cmp_gt_i64_e32 vcc, 0, v[7:8]
	v_not_b32_e32 v11, v8
	v_lshlrev_b32_e32 v8, 28, v2
	v_and_b32_e32 v2, exec_hi, v10
	v_and_b32_e32 v9, exec_lo, v9
	v_xor_b32_e32 v10, s1, v1
	v_xor_b32_e32 v1, s0, v1
	v_ashrrev_i32_e32 v11, 31, v11
	v_cmp_gt_i64_e64 s[0:1], 0, v[7:8]
	v_not_b32_e32 v7, v8
	v_and_b32_e32 v2, v2, v10
	v_and_b32_e32 v1, v9, v1
	v_xor_b32_e32 v8, vcc_hi, v11
	v_xor_b32_e32 v9, vcc_lo, v11
	v_ashrrev_i32_e32 v7, 31, v7
	v_and_b32_e32 v2, v2, v8
	v_and_b32_e32 v1, v1, v9
	v_xor_b32_e32 v8, s1, v7
	v_xor_b32_e32 v7, s0, v7
	v_and_b32_e32 v1, v1, v7
	v_and_b32_e32 v2, v2, v8
	v_mbcnt_lo_u32_b32 v7, v1, 0
	v_mbcnt_hi_u32_b32 v7, v2, v7
	v_cmp_ne_u64_e32 vcc, 0, v[1:2]
	v_cmp_eq_u32_e64 s[0:1], 0, v7
	s_and_b64 s[4:5], vcc, s[0:1]
	; wave barrier
	; wave barrier
	s_and_saveexec_b64 s[0:1], s[4:5]
; %bb.1:
	v_bcnt_u32_b32 v1, v1, 0
	v_bcnt_u32_b32 v1, v2, v1
	ds_write_b32 v6, v1 offset:4
; %bb.2:
	s_or_b64 exec, exec, s[0:1]
	; wave barrier
	s_waitcnt lgkmcnt(0)
	; wave barrier
	ds_read_b32 v1, v3 offset:4
	v_and_b32_e32 v2, 15, v5
	v_cmp_ne_u32_e32 vcc, 0, v2
	s_waitcnt lgkmcnt(0)
	v_mov_b32_dpp v8, v1 row_shr:1 row_mask:0xf bank_mask:0xf
	v_cndmask_b32_e32 v8, 0, v8, vcc
	v_add_u32_e32 v1, v8, v1
	v_cmp_lt_u32_e32 vcc, 1, v2
	s_nop 0
	v_mov_b32_dpp v8, v1 row_shr:2 row_mask:0xf bank_mask:0xf
	v_cndmask_b32_e32 v8, 0, v8, vcc
	v_add_u32_e32 v1, v1, v8
	v_cmp_lt_u32_e32 vcc, 3, v2
	s_nop 0
	;; [unrolled: 5-line block ×3, first 2 shown]
	v_mov_b32_dpp v8, v1 row_shr:8 row_mask:0xf bank_mask:0xf
	v_cndmask_b32_e32 v2, 0, v8, vcc
	v_add_u32_e32 v1, v1, v2
	v_bfe_i32 v8, v5, 4, 1
	v_cmp_lt_u32_e32 vcc, 31, v5
	v_mov_b32_dpp v2, v1 row_bcast:15 row_mask:0xf bank_mask:0xf
	v_and_b32_e32 v2, v8, v2
	v_add_u32_e32 v1, v1, v2
	s_nop 1
	v_mov_b32_dpp v2, v1 row_bcast:31 row_mask:0xf bank_mask:0xf
	v_cndmask_b32_e32 v2, 0, v2, vcc
	v_add_u32_e32 v1, v1, v2
	v_cmp_eq_u32_e32 vcc, 63, v0
	s_and_saveexec_b64 s[0:1], vcc
; %bb.3:
	v_mov_b32_e32 v0, 0
	ds_write_b32 v0, v1
; %bb.4:
	s_or_b64 exec, exec, s[0:1]
	v_subrev_co_u32_e32 v0, vcc, 1, v5
	v_and_b32_e32 v2, 64, v5
	v_cmp_lt_i32_e64 s[0:1], v0, v2
	v_cndmask_b32_e64 v0, v0, v5, s[0:1]
	v_lshlrev_b32_e32 v0, 2, v0
	ds_bpermute_b32 v0, v0, v1
	s_waitcnt lgkmcnt(0)
	; wave barrier
	s_add_u32 s0, s2, s6
	s_addc_u32 s1, s3, s7
	v_cndmask_b32_e64 v0, v0, 0, vcc
	ds_write_b32 v3, v0 offset:4
	s_waitcnt lgkmcnt(0)
	; wave barrier
	ds_read_b32 v0, v6 offset:4
	s_waitcnt lgkmcnt(0)
	; wave barrier
	v_add_u32_e32 v0, v0, v7
	ds_write_b32 v4, v0
	; wave barrier
	ds_read_b32 v0, v4
	s_waitcnt lgkmcnt(0)
	global_store_dword v3, v0, s[0:1]
	s_endpgm
	.section	.rodata,"a",@progbits
	.p2align	6, 0x0
	.amdhsa_kernel _Z11rank_kernelILj64ELj1ELj4ELb0EL18RadixRankAlgorithm2EjEvPKT4_Pijj
		.amdhsa_group_segment_fixed_size 272
		.amdhsa_private_segment_fixed_size 0
		.amdhsa_kernarg_size 280
		.amdhsa_user_sgpr_count 6
		.amdhsa_user_sgpr_private_segment_buffer 1
		.amdhsa_user_sgpr_dispatch_ptr 0
		.amdhsa_user_sgpr_queue_ptr 0
		.amdhsa_user_sgpr_kernarg_segment_ptr 1
		.amdhsa_user_sgpr_dispatch_id 0
		.amdhsa_user_sgpr_flat_scratch_init 0
		.amdhsa_user_sgpr_private_segment_size 0
		.amdhsa_uses_dynamic_stack 0
		.amdhsa_system_sgpr_private_segment_wavefront_offset 0
		.amdhsa_system_sgpr_workgroup_id_x 1
		.amdhsa_system_sgpr_workgroup_id_y 0
		.amdhsa_system_sgpr_workgroup_id_z 0
		.amdhsa_system_sgpr_workgroup_info 0
		.amdhsa_system_vgpr_workitem_id 2
		.amdhsa_next_free_vgpr 12
		.amdhsa_next_free_sgpr 10
		.amdhsa_reserve_vcc 1
		.amdhsa_reserve_flat_scratch 0
		.amdhsa_float_round_mode_32 0
		.amdhsa_float_round_mode_16_64 0
		.amdhsa_float_denorm_mode_32 3
		.amdhsa_float_denorm_mode_16_64 3
		.amdhsa_dx10_clamp 1
		.amdhsa_ieee_mode 1
		.amdhsa_fp16_overflow 0
		.amdhsa_exception_fp_ieee_invalid_op 0
		.amdhsa_exception_fp_denorm_src 0
		.amdhsa_exception_fp_ieee_div_zero 0
		.amdhsa_exception_fp_ieee_overflow 0
		.amdhsa_exception_fp_ieee_underflow 0
		.amdhsa_exception_fp_ieee_inexact 0
		.amdhsa_exception_int_div_zero 0
	.end_amdhsa_kernel
	.section	.text._Z11rank_kernelILj64ELj1ELj4ELb0EL18RadixRankAlgorithm2EjEvPKT4_Pijj,"axG",@progbits,_Z11rank_kernelILj64ELj1ELj4ELb0EL18RadixRankAlgorithm2EjEvPKT4_Pijj,comdat
.Lfunc_end74:
	.size	_Z11rank_kernelILj64ELj1ELj4ELb0EL18RadixRankAlgorithm2EjEvPKT4_Pijj, .Lfunc_end74-_Z11rank_kernelILj64ELj1ELj4ELb0EL18RadixRankAlgorithm2EjEvPKT4_Pijj
                                        ; -- End function
	.set _Z11rank_kernelILj64ELj1ELj4ELb0EL18RadixRankAlgorithm2EjEvPKT4_Pijj.num_vgpr, 12
	.set _Z11rank_kernelILj64ELj1ELj4ELb0EL18RadixRankAlgorithm2EjEvPKT4_Pijj.num_agpr, 0
	.set _Z11rank_kernelILj64ELj1ELj4ELb0EL18RadixRankAlgorithm2EjEvPKT4_Pijj.numbered_sgpr, 10
	.set _Z11rank_kernelILj64ELj1ELj4ELb0EL18RadixRankAlgorithm2EjEvPKT4_Pijj.num_named_barrier, 0
	.set _Z11rank_kernelILj64ELj1ELj4ELb0EL18RadixRankAlgorithm2EjEvPKT4_Pijj.private_seg_size, 0
	.set _Z11rank_kernelILj64ELj1ELj4ELb0EL18RadixRankAlgorithm2EjEvPKT4_Pijj.uses_vcc, 1
	.set _Z11rank_kernelILj64ELj1ELj4ELb0EL18RadixRankAlgorithm2EjEvPKT4_Pijj.uses_flat_scratch, 0
	.set _Z11rank_kernelILj64ELj1ELj4ELb0EL18RadixRankAlgorithm2EjEvPKT4_Pijj.has_dyn_sized_stack, 0
	.set _Z11rank_kernelILj64ELj1ELj4ELb0EL18RadixRankAlgorithm2EjEvPKT4_Pijj.has_recursion, 0
	.set _Z11rank_kernelILj64ELj1ELj4ELb0EL18RadixRankAlgorithm2EjEvPKT4_Pijj.has_indirect_call, 0
	.section	.AMDGPU.csdata,"",@progbits
; Kernel info:
; codeLenInByte = 716
; TotalNumSgprs: 14
; NumVgprs: 12
; ScratchSize: 0
; MemoryBound: 0
; FloatMode: 240
; IeeeMode: 1
; LDSByteSize: 272 bytes/workgroup (compile time only)
; SGPRBlocks: 1
; VGPRBlocks: 2
; NumSGPRsForWavesPerEU: 14
; NumVGPRsForWavesPerEU: 12
; Occupancy: 10
; WaveLimiterHint : 0
; COMPUTE_PGM_RSRC2:SCRATCH_EN: 0
; COMPUTE_PGM_RSRC2:USER_SGPR: 6
; COMPUTE_PGM_RSRC2:TRAP_HANDLER: 0
; COMPUTE_PGM_RSRC2:TGID_X_EN: 1
; COMPUTE_PGM_RSRC2:TGID_Y_EN: 0
; COMPUTE_PGM_RSRC2:TGID_Z_EN: 0
; COMPUTE_PGM_RSRC2:TIDIG_COMP_CNT: 2
	.section	.AMDGPU.gpr_maximums,"",@progbits
	.set amdgpu.max_num_vgpr, 0
	.set amdgpu.max_num_agpr, 0
	.set amdgpu.max_num_sgpr, 0
	.section	.AMDGPU.csdata,"",@progbits
	.type	__hip_cuid_b7bdf21084798dd0,@object ; @__hip_cuid_b7bdf21084798dd0
	.section	.bss,"aw",@nobits
	.globl	__hip_cuid_b7bdf21084798dd0
__hip_cuid_b7bdf21084798dd0:
	.byte	0                               ; 0x0
	.size	__hip_cuid_b7bdf21084798dd0, 1

	.ident	"AMD clang version 22.0.0git (https://github.com/RadeonOpenCompute/llvm-project roc-7.2.4 26084 f58b06dce1f9c15707c5f808fd002e18c2accf7e)"
	.section	".note.GNU-stack","",@progbits
	.addrsig
	.addrsig_sym __hip_cuid_b7bdf21084798dd0
	.amdgpu_metadata
---
amdhsa.kernels:
  - .args:
      - .address_space:  global
        .offset:         0
        .size:           8
        .value_kind:     global_buffer
      - .address_space:  global
        .offset:         8
        .size:           8
        .value_kind:     global_buffer
      - .offset:         16
        .size:           4
        .value_kind:     by_value
      - .offset:         20
        .size:           4
        .value_kind:     by_value
    .group_segment_fixed_size: 6192
    .kernarg_segment_align: 8
    .kernarg_segment_size: 24
    .language:       OpenCL C
    .language_version:
      - 2
      - 0
    .max_flat_workgroup_size: 193
    .name:           _Z11rank_kernelILj193ELj2ELj4ELb1EL18RadixRankAlgorithm0E12hip_bfloat16EvPKT4_Pijj
    .private_segment_fixed_size: 0
    .sgpr_count:     14
    .sgpr_spill_count: 0
    .symbol:         _Z11rank_kernelILj193ELj2ELj4ELb1EL18RadixRankAlgorithm0E12hip_bfloat16EvPKT4_Pijj.kd
    .uniform_work_group_size: 1
    .uses_dynamic_stack: false
    .vgpr_count:     19
    .vgpr_spill_count: 0
    .wavefront_size: 64
  - .args:
      - .address_space:  global
        .offset:         0
        .size:           8
        .value_kind:     global_buffer
      - .address_space:  global
        .offset:         8
        .size:           8
        .value_kind:     global_buffer
      - .offset:         16
        .size:           4
        .value_kind:     by_value
      - .offset:         20
        .size:           4
        .value_kind:     by_value
    .group_segment_fixed_size: 6192
    .kernarg_segment_align: 8
    .kernarg_segment_size: 24
    .language:       OpenCL C
    .language_version:
      - 2
      - 0
    .max_flat_workgroup_size: 193
    .name:           _Z11rank_kernelILj193ELj2ELj4ELb1EL18RadixRankAlgorithm0E6__halfEvPKT4_Pijj
    .private_segment_fixed_size: 0
    .sgpr_count:     14
    .sgpr_spill_count: 0
    .symbol:         _Z11rank_kernelILj193ELj2ELj4ELb1EL18RadixRankAlgorithm0E6__halfEvPKT4_Pijj.kd
    .uniform_work_group_size: 1
    .uses_dynamic_stack: false
    .vgpr_count:     19
    .vgpr_spill_count: 0
    .wavefront_size: 64
  - .args:
      - .address_space:  global
        .offset:         0
        .size:           8
        .value_kind:     global_buffer
      - .address_space:  global
        .offset:         8
        .size:           8
        .value_kind:     global_buffer
      - .offset:         16
        .size:           4
        .value_kind:     by_value
      - .offset:         20
        .size:           4
        .value_kind:     by_value
    .group_segment_fixed_size: 20752
    .kernarg_segment_align: 8
    .kernarg_segment_size: 24
    .language:       OpenCL C
    .language_version:
      - 2
      - 0
    .max_flat_workgroup_size: 162
    .name:           _Z11rank_kernelILj162ELj2ELj6ELb1EL18RadixRankAlgorithm0EjEvPKT4_Pijj
    .private_segment_fixed_size: 0
    .sgpr_count:     14
    .sgpr_spill_count: 0
    .symbol:         _Z11rank_kernelILj162ELj2ELj6ELb1EL18RadixRankAlgorithm0EjEvPKT4_Pijj.kd
    .uniform_work_group_size: 1
    .uses_dynamic_stack: false
    .vgpr_count:     27
    .vgpr_spill_count: 0
    .wavefront_size: 64
  - .args:
      - .address_space:  global
        .offset:         0
        .size:           8
        .value_kind:     global_buffer
      - .address_space:  global
        .offset:         8
        .size:           8
        .value_kind:     global_buffer
      - .offset:         16
        .size:           4
        .value_kind:     by_value
      - .offset:         20
        .size:           4
        .value_kind:     by_value
    .group_segment_fixed_size: 976
    .kernarg_segment_align: 8
    .kernarg_segment_size: 24
    .language:       OpenCL C
    .language_version:
      - 2
      - 0
    .max_flat_workgroup_size: 60
    .name:           _Z11rank_kernelILj60ELj1ELj3ELb1EL18RadixRankAlgorithm0EfEvPKT4_Pijj
    .private_segment_fixed_size: 0
    .sgpr_count:     15
    .sgpr_spill_count: 0
    .symbol:         _Z11rank_kernelILj60ELj1ELj3ELb1EL18RadixRankAlgorithm0EfEvPKT4_Pijj.kd
    .uniform_work_group_size: 1
    .uses_dynamic_stack: false
    .vgpr_count:     9
    .vgpr_spill_count: 0
    .wavefront_size: 64
  - .args:
      - .address_space:  global
        .offset:         0
        .size:           8
        .value_kind:     global_buffer
      - .address_space:  global
        .offset:         8
        .size:           8
        .value_kind:     global_buffer
      - .offset:         16
        .size:           4
        .value_kind:     by_value
      - .offset:         20
        .size:           4
        .value_kind:     by_value
    .group_segment_fixed_size: 1648
    .kernarg_segment_align: 8
    .kernarg_segment_size: 24
    .language:       OpenCL C
    .language_version:
      - 2
      - 0
    .max_flat_workgroup_size: 102
    .name:           _Z11rank_kernelILj102ELj3ELj3ELb1EL18RadixRankAlgorithm0EtEvPKT4_Pijj
    .private_segment_fixed_size: 0
    .sgpr_count:     15
    .sgpr_spill_count: 0
    .symbol:         _Z11rank_kernelILj102ELj3ELj3ELb1EL18RadixRankAlgorithm0EtEvPKT4_Pijj.kd
    .uniform_work_group_size: 1
    .uses_dynamic_stack: false
    .vgpr_count:     16
    .vgpr_spill_count: 0
    .wavefront_size: 64
  - .args:
      - .address_space:  global
        .offset:         0
        .size:           8
        .value_kind:     global_buffer
      - .address_space:  global
        .offset:         8
        .size:           8
        .value_kind:     global_buffer
      - .offset:         16
        .size:           4
        .value_kind:     by_value
      - .offset:         20
        .size:           4
        .value_kind:     by_value
    .group_segment_fixed_size: 4112
    .kernarg_segment_align: 8
    .kernarg_segment_size: 24
    .language:       OpenCL C
    .language_version:
      - 2
      - 0
    .max_flat_workgroup_size: 64
    .name:           _Z11rank_kernelILj64ELj1ELj5ELb0EL18RadixRankAlgorithm0EyEvPKT4_Pijj
    .private_segment_fixed_size: 0
    .sgpr_count:     14
    .sgpr_spill_count: 0
    .symbol:         _Z11rank_kernelILj64ELj1ELj5ELb0EL18RadixRankAlgorithm0EyEvPKT4_Pijj.kd
    .uniform_work_group_size: 1
    .uses_dynamic_stack: false
    .vgpr_count:     23
    .vgpr_spill_count: 0
    .wavefront_size: 64
  - .args:
      - .address_space:  global
        .offset:         0
        .size:           8
        .value_kind:     global_buffer
      - .address_space:  global
        .offset:         8
        .size:           8
        .value_kind:     global_buffer
      - .offset:         16
        .size:           4
        .value_kind:     by_value
      - .offset:         20
        .size:           4
        .value_kind:     by_value
    .group_segment_fixed_size: 8432
    .kernarg_segment_align: 8
    .kernarg_segment_size: 24
    .language:       OpenCL C
    .language_version:
      - 2
      - 0
    .max_flat_workgroup_size: 234
    .name:           _Z11rank_kernelILj234ELj9ELj4ELb0EL18RadixRankAlgorithm0E12hip_bfloat16EvPKT4_Pijj
    .private_segment_fixed_size: 0
    .sgpr_count:     14
    .sgpr_spill_count: 0
    .symbol:         _Z11rank_kernelILj234ELj9ELj4ELb0EL18RadixRankAlgorithm0E12hip_bfloat16EvPKT4_Pijj.kd
    .uniform_work_group_size: 1
    .uses_dynamic_stack: false
    .vgpr_count:     32
    .vgpr_spill_count: 0
    .wavefront_size: 64
  - .args:
      - .address_space:  global
        .offset:         0
        .size:           8
        .value_kind:     global_buffer
      - .address_space:  global
        .offset:         8
        .size:           8
        .value_kind:     global_buffer
      - .offset:         16
        .size:           4
        .value_kind:     by_value
      - .offset:         20
        .size:           4
        .value_kind:     by_value
    .group_segment_fixed_size: 8432
    .kernarg_segment_align: 8
    .kernarg_segment_size: 24
    .language:       OpenCL C
    .language_version:
      - 2
      - 0
    .max_flat_workgroup_size: 234
    .name:           _Z11rank_kernelILj234ELj9ELj4ELb0EL18RadixRankAlgorithm0E6__halfEvPKT4_Pijj
    .private_segment_fixed_size: 0
    .sgpr_count:     14
    .sgpr_spill_count: 0
    .symbol:         _Z11rank_kernelILj234ELj9ELj4ELb0EL18RadixRankAlgorithm0E6__halfEvPKT4_Pijj.kd
    .uniform_work_group_size: 1
    .uses_dynamic_stack: false
    .vgpr_count:     32
    .vgpr_spill_count: 0
    .wavefront_size: 64
  - .args:
      - .address_space:  global
        .offset:         0
        .size:           8
        .value_kind:     global_buffer
      - .address_space:  global
        .offset:         8
        .size:           8
        .value_kind:     global_buffer
      - .offset:         16
        .size:           4
        .value_kind:     by_value
      - .offset:         20
        .size:           4
        .value_kind:     by_value
    .group_segment_fixed_size: 3216
    .kernarg_segment_align: 8
    .kernarg_segment_size: 24
    .language:       OpenCL C
    .language_version:
      - 2
      - 0
    .max_flat_workgroup_size: 100
    .name:           _Z11rank_kernelILj100ELj3ELj4ELb0EL18RadixRankAlgorithm0EtEvPKT4_Pijj
    .private_segment_fixed_size: 0
    .sgpr_count:     14
    .sgpr_spill_count: 0
    .symbol:         _Z11rank_kernelILj100ELj3ELj4ELb0EL18RadixRankAlgorithm0EtEvPKT4_Pijj.kd
    .uniform_work_group_size: 1
    .uses_dynamic_stack: false
    .vgpr_count:     20
    .vgpr_spill_count: 0
    .wavefront_size: 64
  - .args:
      - .address_space:  global
        .offset:         0
        .size:           8
        .value_kind:     global_buffer
      - .address_space:  global
        .offset:         8
        .size:           8
        .value_kind:     global_buffer
      - .offset:         16
        .size:           4
        .value_kind:     by_value
      - .offset:         20
        .size:           4
        .value_kind:     by_value
    .group_segment_fixed_size: 14880
    .kernarg_segment_align: 8
    .kernarg_segment_size: 24
    .language:       OpenCL C
    .language_version:
      - 2
      - 0
    .max_flat_workgroup_size: 464
    .name:           _Z11rank_kernelILj464ELj2ELj4ELb1EL18RadixRankAlgorithm0EcEvPKT4_Pijj
    .private_segment_fixed_size: 0
    .sgpr_count:     14
    .sgpr_spill_count: 0
    .symbol:         _Z11rank_kernelILj464ELj2ELj4ELb1EL18RadixRankAlgorithm0EcEvPKT4_Pijj.kd
    .uniform_work_group_size: 1
    .uses_dynamic_stack: false
    .vgpr_count:     18
    .vgpr_spill_count: 0
    .wavefront_size: 64
  - .args:
      - .address_space:  global
        .offset:         0
        .size:           8
        .value_kind:     global_buffer
      - .address_space:  global
        .offset:         8
        .size:           8
        .value_kind:     global_buffer
      - .offset:         16
        .size:           4
        .value_kind:     by_value
      - .offset:         20
        .size:           4
        .value_kind:     by_value
    .group_segment_fixed_size: 1328
    .kernarg_segment_align: 8
    .kernarg_segment_size: 24
    .language:       OpenCL C
    .language_version:
      - 2
      - 0
    .max_flat_workgroup_size: 33
    .name:           _Z11rank_kernelILj33ELj5ELj4ELb0EL18RadixRankAlgorithm0EdEvPKT4_Pijj
    .private_segment_fixed_size: 0
    .sgpr_count:     15
    .sgpr_spill_count: 0
    .symbol:         _Z11rank_kernelILj33ELj5ELj4ELb0EL18RadixRankAlgorithm0EdEvPKT4_Pijj.kd
    .uniform_work_group_size: 1
    .uses_dynamic_stack: false
    .vgpr_count:     25
    .vgpr_spill_count: 0
    .wavefront_size: 64
  - .args:
      - .address_space:  global
        .offset:         0
        .size:           8
        .value_kind:     global_buffer
      - .address_space:  global
        .offset:         8
        .size:           8
        .value_kind:     global_buffer
      - .offset:         16
        .size:           4
        .value_kind:     by_value
      - .offset:         20
        .size:           4
        .value_kind:     by_value
    .group_segment_fixed_size: 16416
    .kernarg_segment_align: 8
    .kernarg_segment_size: 24
    .language:       OpenCL C
    .language_version:
      - 2
      - 0
    .max_flat_workgroup_size: 512
    .name:           _Z11rank_kernelILj512ELj2ELj4ELb0EL18RadixRankAlgorithm0EfEvPKT4_Pijj
    .private_segment_fixed_size: 0
    .sgpr_count:     14
    .sgpr_spill_count: 0
    .symbol:         _Z11rank_kernelILj512ELj2ELj4ELb0EL18RadixRankAlgorithm0EfEvPKT4_Pijj.kd
    .uniform_work_group_size: 1
    .uses_dynamic_stack: false
    .vgpr_count:     19
    .vgpr_spill_count: 0
    .wavefront_size: 64
  - .args:
      - .address_space:  global
        .offset:         0
        .size:           8
        .value_kind:     global_buffer
      - .address_space:  global
        .offset:         8
        .size:           8
        .value_kind:     global_buffer
      - .offset:         16
        .size:           4
        .value_kind:     by_value
      - .offset:         20
        .size:           4
        .value_kind:     by_value
    .group_segment_fixed_size: 8208
    .kernarg_segment_align: 8
    .kernarg_segment_size: 24
    .language:       OpenCL C
    .language_version:
      - 2
      - 0
    .max_flat_workgroup_size: 256
    .name:           _Z11rank_kernelILj256ELj7ELj4ELb0EL18RadixRankAlgorithm0EtEvPKT4_Pijj
    .private_segment_fixed_size: 0
    .sgpr_count:     14
    .sgpr_spill_count: 0
    .symbol:         _Z11rank_kernelILj256ELj7ELj4ELb0EL18RadixRankAlgorithm0EtEvPKT4_Pijj.kd
    .uniform_work_group_size: 1
    .uses_dynamic_stack: false
    .vgpr_count:     28
    .vgpr_spill_count: 0
    .wavefront_size: 64
  - .args:
      - .address_space:  global
        .offset:         0
        .size:           8
        .value_kind:     global_buffer
      - .address_space:  global
        .offset:         8
        .size:           8
        .value_kind:     global_buffer
      - .offset:         16
        .size:           4
        .value_kind:     by_value
      - .offset:         20
        .size:           4
        .value_kind:     by_value
    .group_segment_fixed_size: 4112
    .kernarg_segment_align: 8
    .kernarg_segment_size: 24
    .language:       OpenCL C
    .language_version:
      - 2
      - 0
    .max_flat_workgroup_size: 128
    .name:           _Z11rank_kernelILj128ELj4ELj4ELb0EL18RadixRankAlgorithm0EiEvPKT4_Pijj
    .private_segment_fixed_size: 0
    .sgpr_count:     14
    .sgpr_spill_count: 0
    .symbol:         _Z11rank_kernelILj128ELj4ELj4ELb0EL18RadixRankAlgorithm0EiEvPKT4_Pijj.kd
    .uniform_work_group_size: 1
    .uses_dynamic_stack: false
    .vgpr_count:     22
    .vgpr_spill_count: 0
    .wavefront_size: 64
  - .args:
      - .address_space:  global
        .offset:         0
        .size:           8
        .value_kind:     global_buffer
      - .address_space:  global
        .offset:         8
        .size:           8
        .value_kind:     global_buffer
      - .offset:         16
        .size:           4
        .value_kind:     by_value
      - .offset:         20
        .size:           4
        .value_kind:     by_value
    .group_segment_fixed_size: 2064
    .kernarg_segment_align: 8
    .kernarg_segment_size: 24
    .language:       OpenCL C
    .language_version:
      - 2
      - 0
    .max_flat_workgroup_size: 64
    .name:           _Z11rank_kernelILj64ELj2ELj4ELb1EL18RadixRankAlgorithm0EyEvPKT4_Pijj
    .private_segment_fixed_size: 0
    .sgpr_count:     14
    .sgpr_spill_count: 0
    .symbol:         _Z11rank_kernelILj64ELj2ELj4ELb1EL18RadixRankAlgorithm0EyEvPKT4_Pijj.kd
    .uniform_work_group_size: 1
    .uses_dynamic_stack: false
    .vgpr_count:     18
    .vgpr_spill_count: 0
    .wavefront_size: 64
  - .args:
      - .address_space:  global
        .offset:         0
        .size:           8
        .value_kind:     global_buffer
      - .address_space:  global
        .offset:         8
        .size:           8
        .value_kind:     global_buffer
      - .offset:         16
        .size:           4
        .value_kind:     by_value
      - .offset:         20
        .size:           4
        .value_kind:     by_value
    .group_segment_fixed_size: 8176
    .kernarg_segment_align: 8
    .kernarg_segment_size: 24
    .language:       OpenCL C
    .language_version:
      - 2
      - 0
    .max_flat_workgroup_size: 255
    .name:           _Z11rank_kernelILj255ELj1ELj4ELb0EL18RadixRankAlgorithm0EhEvPKT4_Pijj
    .private_segment_fixed_size: 0
    .sgpr_count:     14
    .sgpr_spill_count: 0
    .symbol:         _Z11rank_kernelILj255ELj1ELj4ELb0EL18RadixRankAlgorithm0EhEvPKT4_Pijj.kd
    .uniform_work_group_size: 1
    .uses_dynamic_stack: false
    .vgpr_count:     16
    .vgpr_spill_count: 0
    .wavefront_size: 64
  - .args:
      - .address_space:  global
        .offset:         0
        .size:           8
        .value_kind:     global_buffer
      - .address_space:  global
        .offset:         8
        .size:           8
        .value_kind:     global_buffer
      - .offset:         16
        .size:           4
        .value_kind:     by_value
      - .offset:         20
        .size:           4
        .value_kind:     by_value
    .group_segment_fixed_size: 5200
    .kernarg_segment_align: 8
    .kernarg_segment_size: 24
    .language:       OpenCL C
    .language_version:
      - 2
      - 0
    .max_flat_workgroup_size: 162
    .name:           _Z11rank_kernelILj162ELj1ELj4ELb0EL18RadixRankAlgorithm0EjEvPKT4_Pijj
    .private_segment_fixed_size: 0
    .sgpr_count:     14
    .sgpr_spill_count: 0
    .symbol:         _Z11rank_kernelILj162ELj1ELj4ELb0EL18RadixRankAlgorithm0EjEvPKT4_Pijj.kd
    .uniform_work_group_size: 1
    .uses_dynamic_stack: false
    .vgpr_count:     16
    .vgpr_spill_count: 0
    .wavefront_size: 64
  - .args:
      - .address_space:  global
        .offset:         0
        .size:           8
        .value_kind:     global_buffer
      - .address_space:  global
        .offset:         8
        .size:           8
        .value_kind:     global_buffer
      - .offset:         16
        .size:           4
        .value_kind:     by_value
      - .offset:         20
        .size:           4
        .value_kind:     by_value
    .group_segment_fixed_size: 16352
    .kernarg_segment_align: 8
    .kernarg_segment_size: 24
    .language:       OpenCL C
    .language_version:
      - 2
      - 0
    .max_flat_workgroup_size: 510
    .name:           _Z11rank_kernelILj510ELj1ELj4ELb1EL18RadixRankAlgorithm0ExEvPKT4_Pijj
    .private_segment_fixed_size: 0
    .sgpr_count:     14
    .sgpr_spill_count: 0
    .symbol:         _Z11rank_kernelILj510ELj1ELj4ELb1EL18RadixRankAlgorithm0ExEvPKT4_Pijj.kd
    .uniform_work_group_size: 1
    .uses_dynamic_stack: false
    .vgpr_count:     16
    .vgpr_spill_count: 0
    .wavefront_size: 64
  - .args:
      - .address_space:  global
        .offset:         0
        .size:           8
        .value_kind:     global_buffer
      - .address_space:  global
        .offset:         8
        .size:           8
        .value_kind:     global_buffer
      - .offset:         16
        .size:           4
        .value_kind:     by_value
      - .offset:         20
        .size:           4
        .value_kind:     by_value
    .group_segment_fixed_size: 1200
    .kernarg_segment_align: 8
    .kernarg_segment_size: 24
    .language:       OpenCL C
    .language_version:
      - 2
      - 0
    .max_flat_workgroup_size: 37
    .name:           _Z11rank_kernelILj37ELj1ELj4ELb0EL18RadixRankAlgorithm0EfEvPKT4_Pijj
    .private_segment_fixed_size: 0
    .sgpr_count:     13
    .sgpr_spill_count: 0
    .symbol:         _Z11rank_kernelILj37ELj1ELj4ELb0EL18RadixRankAlgorithm0EfEvPKT4_Pijj.kd
    .uniform_work_group_size: 1
    .uses_dynamic_stack: false
    .vgpr_count:     16
    .vgpr_spill_count: 0
    .wavefront_size: 64
  - .args:
      - .address_space:  global
        .offset:         0
        .size:           8
        .value_kind:     global_buffer
      - .address_space:  global
        .offset:         8
        .size:           8
        .value_kind:     global_buffer
      - .offset:         16
        .size:           4
        .value_kind:     by_value
      - .offset:         20
        .size:           4
        .value_kind:     by_value
    .group_segment_fixed_size: 2096
    .kernarg_segment_align: 8
    .kernarg_segment_size: 24
    .language:       OpenCL C
    .language_version:
      - 2
      - 0
    .max_flat_workgroup_size: 65
    .name:           _Z11rank_kernelILj65ELj1ELj4ELb0EL18RadixRankAlgorithm0EdEvPKT4_Pijj
    .private_segment_fixed_size: 0
    .sgpr_count:     14
    .sgpr_spill_count: 0
    .symbol:         _Z11rank_kernelILj65ELj1ELj4ELb0EL18RadixRankAlgorithm0EdEvPKT4_Pijj.kd
    .uniform_work_group_size: 1
    .uses_dynamic_stack: false
    .vgpr_count:     16
    .vgpr_spill_count: 0
    .wavefront_size: 64
  - .args:
      - .address_space:  global
        .offset:         0
        .size:           8
        .value_kind:     global_buffer
      - .address_space:  global
        .offset:         8
        .size:           8
        .value_kind:     global_buffer
      - .offset:         16
        .size:           4
        .value_kind:     by_value
      - .offset:         20
        .size:           4
        .value_kind:     by_value
    .group_segment_fixed_size: 16416
    .kernarg_segment_align: 8
    .kernarg_segment_size: 24
    .language:       OpenCL C
    .language_version:
      - 2
      - 0
    .max_flat_workgroup_size: 512
    .name:           _Z11rank_kernelILj512ELj1ELj4ELb1EL18RadixRankAlgorithm0EtEvPKT4_Pijj
    .private_segment_fixed_size: 0
    .sgpr_count:     14
    .sgpr_spill_count: 0
    .symbol:         _Z11rank_kernelILj512ELj1ELj4ELb1EL18RadixRankAlgorithm0EtEvPKT4_Pijj.kd
    .uniform_work_group_size: 1
    .uses_dynamic_stack: false
    .vgpr_count:     16
    .vgpr_spill_count: 0
    .wavefront_size: 64
  - .args:
      - .address_space:  global
        .offset:         0
        .size:           8
        .value_kind:     global_buffer
      - .address_space:  global
        .offset:         8
        .size:           8
        .value_kind:     global_buffer
      - .offset:         16
        .size:           4
        .value_kind:     by_value
      - .offset:         20
        .size:           4
        .value_kind:     by_value
    .group_segment_fixed_size: 8208
    .kernarg_segment_align: 8
    .kernarg_segment_size: 24
    .language:       OpenCL C
    .language_version:
      - 2
      - 0
    .max_flat_workgroup_size: 256
    .name:           _Z11rank_kernelILj256ELj1ELj4ELb0EL18RadixRankAlgorithm0EfEvPKT4_Pijj
    .private_segment_fixed_size: 0
    .sgpr_count:     14
    .sgpr_spill_count: 0
    .symbol:         _Z11rank_kernelILj256ELj1ELj4ELb0EL18RadixRankAlgorithm0EfEvPKT4_Pijj.kd
    .uniform_work_group_size: 1
    .uses_dynamic_stack: false
    .vgpr_count:     16
    .vgpr_spill_count: 0
    .wavefront_size: 64
  - .args:
      - .address_space:  global
        .offset:         0
        .size:           8
        .value_kind:     global_buffer
      - .address_space:  global
        .offset:         8
        .size:           8
        .value_kind:     global_buffer
      - .offset:         16
        .size:           4
        .value_kind:     by_value
      - .offset:         20
        .size:           4
        .value_kind:     by_value
    .group_segment_fixed_size: 4112
    .kernarg_segment_align: 8
    .kernarg_segment_size: 24
    .language:       OpenCL C
    .language_version:
      - 2
      - 0
    .max_flat_workgroup_size: 128
    .name:           _Z11rank_kernelILj128ELj1ELj4ELb0EL18RadixRankAlgorithm0E12hip_bfloat16EvPKT4_Pijj
    .private_segment_fixed_size: 0
    .sgpr_count:     14
    .sgpr_spill_count: 0
    .symbol:         _Z11rank_kernelILj128ELj1ELj4ELb0EL18RadixRankAlgorithm0E12hip_bfloat16EvPKT4_Pijj.kd
    .uniform_work_group_size: 1
    .uses_dynamic_stack: false
    .vgpr_count:     16
    .vgpr_spill_count: 0
    .wavefront_size: 64
  - .args:
      - .address_space:  global
        .offset:         0
        .size:           8
        .value_kind:     global_buffer
      - .address_space:  global
        .offset:         8
        .size:           8
        .value_kind:     global_buffer
      - .offset:         16
        .size:           4
        .value_kind:     by_value
      - .offset:         20
        .size:           4
        .value_kind:     by_value
    .group_segment_fixed_size: 4112
    .kernarg_segment_align: 8
    .kernarg_segment_size: 24
    .language:       OpenCL C
    .language_version:
      - 2
      - 0
    .max_flat_workgroup_size: 128
    .name:           _Z11rank_kernelILj128ELj1ELj4ELb0EL18RadixRankAlgorithm0E6__halfEvPKT4_Pijj
    .private_segment_fixed_size: 0
    .sgpr_count:     14
    .sgpr_spill_count: 0
    .symbol:         _Z11rank_kernelILj128ELj1ELj4ELb0EL18RadixRankAlgorithm0E6__halfEvPKT4_Pijj.kd
    .uniform_work_group_size: 1
    .uses_dynamic_stack: false
    .vgpr_count:     16
    .vgpr_spill_count: 0
    .wavefront_size: 64
  - .args:
      - .address_space:  global
        .offset:         0
        .size:           8
        .value_kind:     global_buffer
      - .address_space:  global
        .offset:         8
        .size:           8
        .value_kind:     global_buffer
      - .offset:         16
        .size:           4
        .value_kind:     by_value
      - .offset:         20
        .size:           4
        .value_kind:     by_value
    .group_segment_fixed_size: 2064
    .kernarg_segment_align: 8
    .kernarg_segment_size: 24
    .language:       OpenCL C
    .language_version:
      - 2
      - 0
    .max_flat_workgroup_size: 64
    .name:           _Z11rank_kernelILj64ELj1ELj4ELb0EL18RadixRankAlgorithm0EjEvPKT4_Pijj
    .private_segment_fixed_size: 0
    .sgpr_count:     13
    .sgpr_spill_count: 0
    .symbol:         _Z11rank_kernelILj64ELj1ELj4ELb0EL18RadixRankAlgorithm0EjEvPKT4_Pijj.kd
    .uniform_work_group_size: 1
    .uses_dynamic_stack: false
    .vgpr_count:     16
    .vgpr_spill_count: 0
    .wavefront_size: 64
  - .args:
      - .address_space:  global
        .offset:         0
        .size:           8
        .value_kind:     global_buffer
      - .address_space:  global
        .offset:         8
        .size:           8
        .value_kind:     global_buffer
      - .offset:         16
        .size:           4
        .value_kind:     by_value
      - .offset:         20
        .size:           4
        .value_kind:     by_value
    .group_segment_fixed_size: 6192
    .kernarg_segment_align: 8
    .kernarg_segment_size: 24
    .language:       OpenCL C
    .language_version:
      - 2
      - 0
    .max_flat_workgroup_size: 193
    .name:           _Z11rank_kernelILj193ELj2ELj4ELb1EL18RadixRankAlgorithm1E12hip_bfloat16EvPKT4_Pijj
    .private_segment_fixed_size: 0
    .sgpr_count:     14
    .sgpr_spill_count: 0
    .symbol:         _Z11rank_kernelILj193ELj2ELj4ELb1EL18RadixRankAlgorithm1E12hip_bfloat16EvPKT4_Pijj.kd
    .uniform_work_group_size: 1
    .uses_dynamic_stack: false
    .vgpr_count:     21
    .vgpr_spill_count: 0
    .wavefront_size: 64
  - .args:
      - .address_space:  global
        .offset:         0
        .size:           8
        .value_kind:     global_buffer
      - .address_space:  global
        .offset:         8
        .size:           8
        .value_kind:     global_buffer
      - .offset:         16
        .size:           4
        .value_kind:     by_value
      - .offset:         20
        .size:           4
        .value_kind:     by_value
    .group_segment_fixed_size: 6192
    .kernarg_segment_align: 8
    .kernarg_segment_size: 24
    .language:       OpenCL C
    .language_version:
      - 2
      - 0
    .max_flat_workgroup_size: 193
    .name:           _Z11rank_kernelILj193ELj2ELj4ELb1EL18RadixRankAlgorithm1E6__halfEvPKT4_Pijj
    .private_segment_fixed_size: 0
    .sgpr_count:     14
    .sgpr_spill_count: 0
    .symbol:         _Z11rank_kernelILj193ELj2ELj4ELb1EL18RadixRankAlgorithm1E6__halfEvPKT4_Pijj.kd
    .uniform_work_group_size: 1
    .uses_dynamic_stack: false
    .vgpr_count:     21
    .vgpr_spill_count: 0
    .wavefront_size: 64
  - .args:
      - .address_space:  global
        .offset:         0
        .size:           8
        .value_kind:     global_buffer
      - .address_space:  global
        .offset:         8
        .size:           8
        .value_kind:     global_buffer
      - .offset:         16
        .size:           4
        .value_kind:     by_value
      - .offset:         20
        .size:           4
        .value_kind:     by_value
    .group_segment_fixed_size: 20752
    .kernarg_segment_align: 8
    .kernarg_segment_size: 24
    .language:       OpenCL C
    .language_version:
      - 2
      - 0
    .max_flat_workgroup_size: 162
    .name:           _Z11rank_kernelILj162ELj2ELj6ELb1EL18RadixRankAlgorithm1EjEvPKT4_Pijj
    .private_segment_fixed_size: 0
    .sgpr_count:     14
    .sgpr_spill_count: 0
    .symbol:         _Z11rank_kernelILj162ELj2ELj6ELb1EL18RadixRankAlgorithm1EjEvPKT4_Pijj.kd
    .uniform_work_group_size: 1
    .uses_dynamic_stack: false
    .vgpr_count:     45
    .vgpr_spill_count: 0
    .wavefront_size: 64
  - .args:
      - .address_space:  global
        .offset:         0
        .size:           8
        .value_kind:     global_buffer
      - .address_space:  global
        .offset:         8
        .size:           8
        .value_kind:     global_buffer
      - .offset:         16
        .size:           4
        .value_kind:     by_value
      - .offset:         20
        .size:           4
        .value_kind:     by_value
    .group_segment_fixed_size: 976
    .kernarg_segment_align: 8
    .kernarg_segment_size: 24
    .language:       OpenCL C
    .language_version:
      - 2
      - 0
    .max_flat_workgroup_size: 60
    .name:           _Z11rank_kernelILj60ELj1ELj3ELb1EL18RadixRankAlgorithm1EfEvPKT4_Pijj
    .private_segment_fixed_size: 0
    .sgpr_count:     15
    .sgpr_spill_count: 0
    .symbol:         _Z11rank_kernelILj60ELj1ELj3ELb1EL18RadixRankAlgorithm1EfEvPKT4_Pijj.kd
    .uniform_work_group_size: 1
    .uses_dynamic_stack: false
    .vgpr_count:     12
    .vgpr_spill_count: 0
    .wavefront_size: 64
  - .args:
      - .address_space:  global
        .offset:         0
        .size:           8
        .value_kind:     global_buffer
      - .address_space:  global
        .offset:         8
        .size:           8
        .value_kind:     global_buffer
      - .offset:         16
        .size:           4
        .value_kind:     by_value
      - .offset:         20
        .size:           4
        .value_kind:     by_value
    .group_segment_fixed_size: 1648
    .kernarg_segment_align: 8
    .kernarg_segment_size: 24
    .language:       OpenCL C
    .language_version:
      - 2
      - 0
    .max_flat_workgroup_size: 102
    .name:           _Z11rank_kernelILj102ELj3ELj3ELb1EL18RadixRankAlgorithm1EtEvPKT4_Pijj
    .private_segment_fixed_size: 0
    .sgpr_count:     15
    .sgpr_spill_count: 0
    .symbol:         _Z11rank_kernelILj102ELj3ELj3ELb1EL18RadixRankAlgorithm1EtEvPKT4_Pijj.kd
    .uniform_work_group_size: 1
    .uses_dynamic_stack: false
    .vgpr_count:     19
    .vgpr_spill_count: 0
    .wavefront_size: 64
  - .args:
      - .address_space:  global
        .offset:         0
        .size:           8
        .value_kind:     global_buffer
      - .address_space:  global
        .offset:         8
        .size:           8
        .value_kind:     global_buffer
      - .offset:         16
        .size:           4
        .value_kind:     by_value
      - .offset:         20
        .size:           4
        .value_kind:     by_value
    .group_segment_fixed_size: 4112
    .kernarg_segment_align: 8
    .kernarg_segment_size: 24
    .language:       OpenCL C
    .language_version:
      - 2
      - 0
    .max_flat_workgroup_size: 64
    .name:           _Z11rank_kernelILj64ELj1ELj5ELb0EL18RadixRankAlgorithm1EyEvPKT4_Pijj
    .private_segment_fixed_size: 0
    .sgpr_count:     14
    .sgpr_spill_count: 0
    .symbol:         _Z11rank_kernelILj64ELj1ELj5ELb0EL18RadixRankAlgorithm1EyEvPKT4_Pijj.kd
    .uniform_work_group_size: 1
    .uses_dynamic_stack: false
    .vgpr_count:     24
    .vgpr_spill_count: 0
    .wavefront_size: 64
  - .args:
      - .address_space:  global
        .offset:         0
        .size:           8
        .value_kind:     global_buffer
      - .address_space:  global
        .offset:         8
        .size:           8
        .value_kind:     global_buffer
      - .offset:         16
        .size:           4
        .value_kind:     by_value
      - .offset:         20
        .size:           4
        .value_kind:     by_value
    .group_segment_fixed_size: 8432
    .kernarg_segment_align: 8
    .kernarg_segment_size: 24
    .language:       OpenCL C
    .language_version:
      - 2
      - 0
    .max_flat_workgroup_size: 234
    .name:           _Z11rank_kernelILj234ELj9ELj4ELb0EL18RadixRankAlgorithm1E12hip_bfloat16EvPKT4_Pijj
    .private_segment_fixed_size: 0
    .sgpr_count:     14
    .sgpr_spill_count: 0
    .symbol:         _Z11rank_kernelILj234ELj9ELj4ELb0EL18RadixRankAlgorithm1E12hip_bfloat16EvPKT4_Pijj.kd
    .uniform_work_group_size: 1
    .uses_dynamic_stack: false
    .vgpr_count:     35
    .vgpr_spill_count: 0
    .wavefront_size: 64
  - .args:
      - .address_space:  global
        .offset:         0
        .size:           8
        .value_kind:     global_buffer
      - .address_space:  global
        .offset:         8
        .size:           8
        .value_kind:     global_buffer
      - .offset:         16
        .size:           4
        .value_kind:     by_value
      - .offset:         20
        .size:           4
        .value_kind:     by_value
    .group_segment_fixed_size: 8432
    .kernarg_segment_align: 8
    .kernarg_segment_size: 24
    .language:       OpenCL C
    .language_version:
      - 2
      - 0
    .max_flat_workgroup_size: 234
    .name:           _Z11rank_kernelILj234ELj9ELj4ELb0EL18RadixRankAlgorithm1E6__halfEvPKT4_Pijj
    .private_segment_fixed_size: 0
    .sgpr_count:     14
    .sgpr_spill_count: 0
    .symbol:         _Z11rank_kernelILj234ELj9ELj4ELb0EL18RadixRankAlgorithm1E6__halfEvPKT4_Pijj.kd
    .uniform_work_group_size: 1
    .uses_dynamic_stack: false
    .vgpr_count:     35
    .vgpr_spill_count: 0
    .wavefront_size: 64
  - .args:
      - .address_space:  global
        .offset:         0
        .size:           8
        .value_kind:     global_buffer
      - .address_space:  global
        .offset:         8
        .size:           8
        .value_kind:     global_buffer
      - .offset:         16
        .size:           4
        .value_kind:     by_value
      - .offset:         20
        .size:           4
        .value_kind:     by_value
    .group_segment_fixed_size: 3216
    .kernarg_segment_align: 8
    .kernarg_segment_size: 24
    .language:       OpenCL C
    .language_version:
      - 2
      - 0
    .max_flat_workgroup_size: 100
    .name:           _Z11rank_kernelILj100ELj3ELj4ELb0EL18RadixRankAlgorithm1EtEvPKT4_Pijj
    .private_segment_fixed_size: 0
    .sgpr_count:     14
    .sgpr_spill_count: 0
    .symbol:         _Z11rank_kernelILj100ELj3ELj4ELb0EL18RadixRankAlgorithm1EtEvPKT4_Pijj.kd
    .uniform_work_group_size: 1
    .uses_dynamic_stack: false
    .vgpr_count:     23
    .vgpr_spill_count: 0
    .wavefront_size: 64
  - .args:
      - .address_space:  global
        .offset:         0
        .size:           8
        .value_kind:     global_buffer
      - .address_space:  global
        .offset:         8
        .size:           8
        .value_kind:     global_buffer
      - .offset:         16
        .size:           4
        .value_kind:     by_value
      - .offset:         20
        .size:           4
        .value_kind:     by_value
    .group_segment_fixed_size: 14880
    .kernarg_segment_align: 8
    .kernarg_segment_size: 24
    .language:       OpenCL C
    .language_version:
      - 2
      - 0
    .max_flat_workgroup_size: 464
    .name:           _Z11rank_kernelILj464ELj2ELj4ELb1EL18RadixRankAlgorithm1EcEvPKT4_Pijj
    .private_segment_fixed_size: 0
    .sgpr_count:     14
    .sgpr_spill_count: 0
    .symbol:         _Z11rank_kernelILj464ELj2ELj4ELb1EL18RadixRankAlgorithm1EcEvPKT4_Pijj.kd
    .uniform_work_group_size: 1
    .uses_dynamic_stack: false
    .vgpr_count:     21
    .vgpr_spill_count: 0
    .wavefront_size: 64
  - .args:
      - .address_space:  global
        .offset:         0
        .size:           8
        .value_kind:     global_buffer
      - .address_space:  global
        .offset:         8
        .size:           8
        .value_kind:     global_buffer
      - .offset:         16
        .size:           4
        .value_kind:     by_value
      - .offset:         20
        .size:           4
        .value_kind:     by_value
    .group_segment_fixed_size: 1328
    .kernarg_segment_align: 8
    .kernarg_segment_size: 24
    .language:       OpenCL C
    .language_version:
      - 2
      - 0
    .max_flat_workgroup_size: 33
    .name:           _Z11rank_kernelILj33ELj5ELj4ELb0EL18RadixRankAlgorithm1EdEvPKT4_Pijj
    .private_segment_fixed_size: 0
    .sgpr_count:     15
    .sgpr_spill_count: 0
    .symbol:         _Z11rank_kernelILj33ELj5ELj4ELb0EL18RadixRankAlgorithm1EdEvPKT4_Pijj.kd
    .uniform_work_group_size: 1
    .uses_dynamic_stack: false
    .vgpr_count:     24
    .vgpr_spill_count: 0
    .wavefront_size: 64
  - .args:
      - .address_space:  global
        .offset:         0
        .size:           8
        .value_kind:     global_buffer
      - .address_space:  global
        .offset:         8
        .size:           8
        .value_kind:     global_buffer
      - .offset:         16
        .size:           4
        .value_kind:     by_value
      - .offset:         20
        .size:           4
        .value_kind:     by_value
    .group_segment_fixed_size: 16416
    .kernarg_segment_align: 8
    .kernarg_segment_size: 24
    .language:       OpenCL C
    .language_version:
      - 2
      - 0
    .max_flat_workgroup_size: 512
    .name:           _Z11rank_kernelILj512ELj2ELj4ELb0EL18RadixRankAlgorithm1EfEvPKT4_Pijj
    .private_segment_fixed_size: 0
    .sgpr_count:     14
    .sgpr_spill_count: 0
    .symbol:         _Z11rank_kernelILj512ELj2ELj4ELb0EL18RadixRankAlgorithm1EfEvPKT4_Pijj.kd
    .uniform_work_group_size: 1
    .uses_dynamic_stack: false
    .vgpr_count:     21
    .vgpr_spill_count: 0
    .wavefront_size: 64
  - .args:
      - .address_space:  global
        .offset:         0
        .size:           8
        .value_kind:     global_buffer
      - .address_space:  global
        .offset:         8
        .size:           8
        .value_kind:     global_buffer
      - .offset:         16
        .size:           4
        .value_kind:     by_value
      - .offset:         20
        .size:           4
        .value_kind:     by_value
    .group_segment_fixed_size: 8208
    .kernarg_segment_align: 8
    .kernarg_segment_size: 24
    .language:       OpenCL C
    .language_version:
      - 2
      - 0
    .max_flat_workgroup_size: 256
    .name:           _Z11rank_kernelILj256ELj7ELj4ELb0EL18RadixRankAlgorithm1EtEvPKT4_Pijj
    .private_segment_fixed_size: 0
    .sgpr_count:     14
    .sgpr_spill_count: 0
    .symbol:         _Z11rank_kernelILj256ELj7ELj4ELb0EL18RadixRankAlgorithm1EtEvPKT4_Pijj.kd
    .uniform_work_group_size: 1
    .uses_dynamic_stack: false
    .vgpr_count:     31
    .vgpr_spill_count: 0
    .wavefront_size: 64
  - .args:
      - .address_space:  global
        .offset:         0
        .size:           8
        .value_kind:     global_buffer
      - .address_space:  global
        .offset:         8
        .size:           8
        .value_kind:     global_buffer
      - .offset:         16
        .size:           4
        .value_kind:     by_value
      - .offset:         20
        .size:           4
        .value_kind:     by_value
    .group_segment_fixed_size: 4112
    .kernarg_segment_align: 8
    .kernarg_segment_size: 24
    .language:       OpenCL C
    .language_version:
      - 2
      - 0
    .max_flat_workgroup_size: 128
    .name:           _Z11rank_kernelILj128ELj4ELj4ELb0EL18RadixRankAlgorithm1EiEvPKT4_Pijj
    .private_segment_fixed_size: 0
    .sgpr_count:     14
    .sgpr_spill_count: 0
    .symbol:         _Z11rank_kernelILj128ELj4ELj4ELb0EL18RadixRankAlgorithm1EiEvPKT4_Pijj.kd
    .uniform_work_group_size: 1
    .uses_dynamic_stack: false
    .vgpr_count:     25
    .vgpr_spill_count: 0
    .wavefront_size: 64
  - .args:
      - .address_space:  global
        .offset:         0
        .size:           8
        .value_kind:     global_buffer
      - .address_space:  global
        .offset:         8
        .size:           8
        .value_kind:     global_buffer
      - .offset:         16
        .size:           4
        .value_kind:     by_value
      - .offset:         20
        .size:           4
        .value_kind:     by_value
    .group_segment_fixed_size: 2064
    .kernarg_segment_align: 8
    .kernarg_segment_size: 24
    .language:       OpenCL C
    .language_version:
      - 2
      - 0
    .max_flat_workgroup_size: 64
    .name:           _Z11rank_kernelILj64ELj2ELj4ELb1EL18RadixRankAlgorithm1EyEvPKT4_Pijj
    .private_segment_fixed_size: 0
    .sgpr_count:     14
    .sgpr_spill_count: 0
    .symbol:         _Z11rank_kernelILj64ELj2ELj4ELb1EL18RadixRankAlgorithm1EyEvPKT4_Pijj.kd
    .uniform_work_group_size: 1
    .uses_dynamic_stack: false
    .vgpr_count:     18
    .vgpr_spill_count: 0
    .wavefront_size: 64
  - .args:
      - .address_space:  global
        .offset:         0
        .size:           8
        .value_kind:     global_buffer
      - .address_space:  global
        .offset:         8
        .size:           8
        .value_kind:     global_buffer
      - .offset:         16
        .size:           4
        .value_kind:     by_value
      - .offset:         20
        .size:           4
        .value_kind:     by_value
    .group_segment_fixed_size: 8176
    .kernarg_segment_align: 8
    .kernarg_segment_size: 24
    .language:       OpenCL C
    .language_version:
      - 2
      - 0
    .max_flat_workgroup_size: 255
    .name:           _Z11rank_kernelILj255ELj1ELj4ELb0EL18RadixRankAlgorithm1EhEvPKT4_Pijj
    .private_segment_fixed_size: 0
    .sgpr_count:     14
    .sgpr_spill_count: 0
    .symbol:         _Z11rank_kernelILj255ELj1ELj4ELb0EL18RadixRankAlgorithm1EhEvPKT4_Pijj.kd
    .uniform_work_group_size: 1
    .uses_dynamic_stack: false
    .vgpr_count:     19
    .vgpr_spill_count: 0
    .wavefront_size: 64
  - .args:
      - .address_space:  global
        .offset:         0
        .size:           8
        .value_kind:     global_buffer
      - .address_space:  global
        .offset:         8
        .size:           8
        .value_kind:     global_buffer
      - .offset:         16
        .size:           4
        .value_kind:     by_value
      - .offset:         20
        .size:           4
        .value_kind:     by_value
    .group_segment_fixed_size: 5200
    .kernarg_segment_align: 8
    .kernarg_segment_size: 24
    .language:       OpenCL C
    .language_version:
      - 2
      - 0
    .max_flat_workgroup_size: 162
    .name:           _Z11rank_kernelILj162ELj1ELj4ELb0EL18RadixRankAlgorithm1EjEvPKT4_Pijj
    .private_segment_fixed_size: 0
    .sgpr_count:     14
    .sgpr_spill_count: 0
    .symbol:         _Z11rank_kernelILj162ELj1ELj4ELb0EL18RadixRankAlgorithm1EjEvPKT4_Pijj.kd
    .uniform_work_group_size: 1
    .uses_dynamic_stack: false
    .vgpr_count:     19
    .vgpr_spill_count: 0
    .wavefront_size: 64
  - .args:
      - .address_space:  global
        .offset:         0
        .size:           8
        .value_kind:     global_buffer
      - .address_space:  global
        .offset:         8
        .size:           8
        .value_kind:     global_buffer
      - .offset:         16
        .size:           4
        .value_kind:     by_value
      - .offset:         20
        .size:           4
        .value_kind:     by_value
    .group_segment_fixed_size: 16352
    .kernarg_segment_align: 8
    .kernarg_segment_size: 24
    .language:       OpenCL C
    .language_version:
      - 2
      - 0
    .max_flat_workgroup_size: 510
    .name:           _Z11rank_kernelILj510ELj1ELj4ELb1EL18RadixRankAlgorithm1ExEvPKT4_Pijj
    .private_segment_fixed_size: 0
    .sgpr_count:     14
    .sgpr_spill_count: 0
    .symbol:         _Z11rank_kernelILj510ELj1ELj4ELb1EL18RadixRankAlgorithm1ExEvPKT4_Pijj.kd
    .uniform_work_group_size: 1
    .uses_dynamic_stack: false
    .vgpr_count:     19
    .vgpr_spill_count: 0
    .wavefront_size: 64
  - .args:
      - .address_space:  global
        .offset:         0
        .size:           8
        .value_kind:     global_buffer
      - .address_space:  global
        .offset:         8
        .size:           8
        .value_kind:     global_buffer
      - .offset:         16
        .size:           4
        .value_kind:     by_value
      - .offset:         20
        .size:           4
        .value_kind:     by_value
    .group_segment_fixed_size: 1200
    .kernarg_segment_align: 8
    .kernarg_segment_size: 24
    .language:       OpenCL C
    .language_version:
      - 2
      - 0
    .max_flat_workgroup_size: 37
    .name:           _Z11rank_kernelILj37ELj1ELj4ELb0EL18RadixRankAlgorithm1EfEvPKT4_Pijj
    .private_segment_fixed_size: 0
    .sgpr_count:     13
    .sgpr_spill_count: 0
    .symbol:         _Z11rank_kernelILj37ELj1ELj4ELb0EL18RadixRankAlgorithm1EfEvPKT4_Pijj.kd
    .uniform_work_group_size: 1
    .uses_dynamic_stack: false
    .vgpr_count:     16
    .vgpr_spill_count: 0
    .wavefront_size: 64
  - .args:
      - .address_space:  global
        .offset:         0
        .size:           8
        .value_kind:     global_buffer
      - .address_space:  global
        .offset:         8
        .size:           8
        .value_kind:     global_buffer
      - .offset:         16
        .size:           4
        .value_kind:     by_value
      - .offset:         20
        .size:           4
        .value_kind:     by_value
    .group_segment_fixed_size: 2096
    .kernarg_segment_align: 8
    .kernarg_segment_size: 24
    .language:       OpenCL C
    .language_version:
      - 2
      - 0
    .max_flat_workgroup_size: 65
    .name:           _Z11rank_kernelILj65ELj1ELj4ELb0EL18RadixRankAlgorithm1EdEvPKT4_Pijj
    .private_segment_fixed_size: 0
    .sgpr_count:     14
    .sgpr_spill_count: 0
    .symbol:         _Z11rank_kernelILj65ELj1ELj4ELb0EL18RadixRankAlgorithm1EdEvPKT4_Pijj.kd
    .uniform_work_group_size: 1
    .uses_dynamic_stack: false
    .vgpr_count:     18
    .vgpr_spill_count: 0
    .wavefront_size: 64
  - .args:
      - .address_space:  global
        .offset:         0
        .size:           8
        .value_kind:     global_buffer
      - .address_space:  global
        .offset:         8
        .size:           8
        .value_kind:     global_buffer
      - .offset:         16
        .size:           4
        .value_kind:     by_value
      - .offset:         20
        .size:           4
        .value_kind:     by_value
    .group_segment_fixed_size: 16416
    .kernarg_segment_align: 8
    .kernarg_segment_size: 24
    .language:       OpenCL C
    .language_version:
      - 2
      - 0
    .max_flat_workgroup_size: 512
    .name:           _Z11rank_kernelILj512ELj1ELj4ELb1EL18RadixRankAlgorithm1EtEvPKT4_Pijj
    .private_segment_fixed_size: 0
    .sgpr_count:     14
    .sgpr_spill_count: 0
    .symbol:         _Z11rank_kernelILj512ELj1ELj4ELb1EL18RadixRankAlgorithm1EtEvPKT4_Pijj.kd
    .uniform_work_group_size: 1
    .uses_dynamic_stack: false
    .vgpr_count:     19
    .vgpr_spill_count: 0
    .wavefront_size: 64
  - .args:
      - .address_space:  global
        .offset:         0
        .size:           8
        .value_kind:     global_buffer
      - .address_space:  global
        .offset:         8
        .size:           8
        .value_kind:     global_buffer
      - .offset:         16
        .size:           4
        .value_kind:     by_value
      - .offset:         20
        .size:           4
        .value_kind:     by_value
    .group_segment_fixed_size: 8208
    .kernarg_segment_align: 8
    .kernarg_segment_size: 24
    .language:       OpenCL C
    .language_version:
      - 2
      - 0
    .max_flat_workgroup_size: 256
    .name:           _Z11rank_kernelILj256ELj1ELj4ELb0EL18RadixRankAlgorithm1EfEvPKT4_Pijj
    .private_segment_fixed_size: 0
    .sgpr_count:     14
    .sgpr_spill_count: 0
    .symbol:         _Z11rank_kernelILj256ELj1ELj4ELb0EL18RadixRankAlgorithm1EfEvPKT4_Pijj.kd
    .uniform_work_group_size: 1
    .uses_dynamic_stack: false
    .vgpr_count:     19
    .vgpr_spill_count: 0
    .wavefront_size: 64
  - .args:
      - .address_space:  global
        .offset:         0
        .size:           8
        .value_kind:     global_buffer
      - .address_space:  global
        .offset:         8
        .size:           8
        .value_kind:     global_buffer
      - .offset:         16
        .size:           4
        .value_kind:     by_value
      - .offset:         20
        .size:           4
        .value_kind:     by_value
    .group_segment_fixed_size: 4112
    .kernarg_segment_align: 8
    .kernarg_segment_size: 24
    .language:       OpenCL C
    .language_version:
      - 2
      - 0
    .max_flat_workgroup_size: 128
    .name:           _Z11rank_kernelILj128ELj1ELj4ELb0EL18RadixRankAlgorithm1E12hip_bfloat16EvPKT4_Pijj
    .private_segment_fixed_size: 0
    .sgpr_count:     14
    .sgpr_spill_count: 0
    .symbol:         _Z11rank_kernelILj128ELj1ELj4ELb0EL18RadixRankAlgorithm1E12hip_bfloat16EvPKT4_Pijj.kd
    .uniform_work_group_size: 1
    .uses_dynamic_stack: false
    .vgpr_count:     19
    .vgpr_spill_count: 0
    .wavefront_size: 64
  - .args:
      - .address_space:  global
        .offset:         0
        .size:           8
        .value_kind:     global_buffer
      - .address_space:  global
        .offset:         8
        .size:           8
        .value_kind:     global_buffer
      - .offset:         16
        .size:           4
        .value_kind:     by_value
      - .offset:         20
        .size:           4
        .value_kind:     by_value
    .group_segment_fixed_size: 4112
    .kernarg_segment_align: 8
    .kernarg_segment_size: 24
    .language:       OpenCL C
    .language_version:
      - 2
      - 0
    .max_flat_workgroup_size: 128
    .name:           _Z11rank_kernelILj128ELj1ELj4ELb0EL18RadixRankAlgorithm1E6__halfEvPKT4_Pijj
    .private_segment_fixed_size: 0
    .sgpr_count:     14
    .sgpr_spill_count: 0
    .symbol:         _Z11rank_kernelILj128ELj1ELj4ELb0EL18RadixRankAlgorithm1E6__halfEvPKT4_Pijj.kd
    .uniform_work_group_size: 1
    .uses_dynamic_stack: false
    .vgpr_count:     19
    .vgpr_spill_count: 0
    .wavefront_size: 64
  - .args:
      - .address_space:  global
        .offset:         0
        .size:           8
        .value_kind:     global_buffer
      - .address_space:  global
        .offset:         8
        .size:           8
        .value_kind:     global_buffer
      - .offset:         16
        .size:           4
        .value_kind:     by_value
      - .offset:         20
        .size:           4
        .value_kind:     by_value
    .group_segment_fixed_size: 2064
    .kernarg_segment_align: 8
    .kernarg_segment_size: 24
    .language:       OpenCL C
    .language_version:
      - 2
      - 0
    .max_flat_workgroup_size: 64
    .name:           _Z11rank_kernelILj64ELj1ELj4ELb0EL18RadixRankAlgorithm1EjEvPKT4_Pijj
    .private_segment_fixed_size: 0
    .sgpr_count:     13
    .sgpr_spill_count: 0
    .symbol:         _Z11rank_kernelILj64ELj1ELj4ELb0EL18RadixRankAlgorithm1EjEvPKT4_Pijj.kd
    .uniform_work_group_size: 1
    .uses_dynamic_stack: false
    .vgpr_count:     16
    .vgpr_spill_count: 0
    .wavefront_size: 64
  - .args:
      - .address_space:  global
        .offset:         0
        .size:           8
        .value_kind:     global_buffer
      - .address_space:  global
        .offset:         8
        .size:           8
        .value_kind:     global_buffer
      - .offset:         16
        .size:           4
        .value_kind:     by_value
      - .offset:         20
        .size:           4
        .value_kind:     by_value
      - .offset:         24
        .size:           4
        .value_kind:     hidden_block_count_x
      - .offset:         28
        .size:           4
        .value_kind:     hidden_block_count_y
      - .offset:         32
        .size:           4
        .value_kind:     hidden_block_count_z
      - .offset:         36
        .size:           2
        .value_kind:     hidden_group_size_x
      - .offset:         38
        .size:           2
        .value_kind:     hidden_group_size_y
      - .offset:         40
        .size:           2
        .value_kind:     hidden_group_size_z
      - .offset:         42
        .size:           2
        .value_kind:     hidden_remainder_x
      - .offset:         44
        .size:           2
        .value_kind:     hidden_remainder_y
      - .offset:         46
        .size:           2
        .value_kind:     hidden_remainder_z
      - .offset:         64
        .size:           8
        .value_kind:     hidden_global_offset_x
      - .offset:         72
        .size:           8
        .value_kind:     hidden_global_offset_y
      - .offset:         80
        .size:           8
        .value_kind:     hidden_global_offset_z
      - .offset:         88
        .size:           2
        .value_kind:     hidden_grid_dims
    .group_segment_fixed_size: 1600
    .kernarg_segment_align: 8
    .kernarg_segment_size: 280
    .language:       OpenCL C
    .language_version:
      - 2
      - 0
    .max_flat_workgroup_size: 193
    .name:           _Z11rank_kernelILj193ELj2ELj4ELb1EL18RadixRankAlgorithm2E12hip_bfloat16EvPKT4_Pijj
    .private_segment_fixed_size: 0
    .sgpr_count:     18
    .sgpr_spill_count: 0
    .symbol:         _Z11rank_kernelILj193ELj2ELj4ELb1EL18RadixRankAlgorithm2E12hip_bfloat16EvPKT4_Pijj.kd
    .uniform_work_group_size: 1
    .uses_dynamic_stack: false
    .vgpr_count:     19
    .vgpr_spill_count: 0
    .wavefront_size: 64
  - .args:
      - .address_space:  global
        .offset:         0
        .size:           8
        .value_kind:     global_buffer
      - .address_space:  global
        .offset:         8
        .size:           8
        .value_kind:     global_buffer
      - .offset:         16
        .size:           4
        .value_kind:     by_value
      - .offset:         20
        .size:           4
        .value_kind:     by_value
      - .offset:         24
        .size:           4
        .value_kind:     hidden_block_count_x
      - .offset:         28
        .size:           4
        .value_kind:     hidden_block_count_y
      - .offset:         32
        .size:           4
        .value_kind:     hidden_block_count_z
      - .offset:         36
        .size:           2
        .value_kind:     hidden_group_size_x
      - .offset:         38
        .size:           2
        .value_kind:     hidden_group_size_y
      - .offset:         40
        .size:           2
        .value_kind:     hidden_group_size_z
      - .offset:         42
        .size:           2
        .value_kind:     hidden_remainder_x
      - .offset:         44
        .size:           2
        .value_kind:     hidden_remainder_y
      - .offset:         46
        .size:           2
        .value_kind:     hidden_remainder_z
      - .offset:         64
        .size:           8
        .value_kind:     hidden_global_offset_x
      - .offset:         72
        .size:           8
        .value_kind:     hidden_global_offset_y
      - .offset:         80
        .size:           8
        .value_kind:     hidden_global_offset_z
      - .offset:         88
        .size:           2
        .value_kind:     hidden_grid_dims
    .group_segment_fixed_size: 1600
    .kernarg_segment_align: 8
    .kernarg_segment_size: 280
    .language:       OpenCL C
    .language_version:
      - 2
      - 0
    .max_flat_workgroup_size: 193
    .name:           _Z11rank_kernelILj193ELj2ELj4ELb1EL18RadixRankAlgorithm2E6__halfEvPKT4_Pijj
    .private_segment_fixed_size: 0
    .sgpr_count:     18
    .sgpr_spill_count: 0
    .symbol:         _Z11rank_kernelILj193ELj2ELj4ELb1EL18RadixRankAlgorithm2E6__halfEvPKT4_Pijj.kd
    .uniform_work_group_size: 1
    .uses_dynamic_stack: false
    .vgpr_count:     19
    .vgpr_spill_count: 0
    .wavefront_size: 64
  - .args:
      - .address_space:  global
        .offset:         0
        .size:           8
        .value_kind:     global_buffer
      - .address_space:  global
        .offset:         8
        .size:           8
        .value_kind:     global_buffer
      - .offset:         16
        .size:           4
        .value_kind:     by_value
      - .offset:         20
        .size:           4
        .value_kind:     by_value
      - .offset:         24
        .size:           4
        .value_kind:     hidden_block_count_x
      - .offset:         28
        .size:           4
        .value_kind:     hidden_block_count_y
      - .offset:         32
        .size:           4
        .value_kind:     hidden_block_count_z
      - .offset:         36
        .size:           2
        .value_kind:     hidden_group_size_x
      - .offset:         38
        .size:           2
        .value_kind:     hidden_group_size_y
      - .offset:         40
        .size:           2
        .value_kind:     hidden_group_size_z
      - .offset:         42
        .size:           2
        .value_kind:     hidden_remainder_x
      - .offset:         44
        .size:           2
        .value_kind:     hidden_remainder_y
      - .offset:         46
        .size:           2
        .value_kind:     hidden_remainder_z
      - .offset:         64
        .size:           8
        .value_kind:     hidden_global_offset_x
      - .offset:         72
        .size:           8
        .value_kind:     hidden_global_offset_y
      - .offset:         80
        .size:           8
        .value_kind:     hidden_global_offset_z
      - .offset:         88
        .size:           2
        .value_kind:     hidden_grid_dims
    .group_segment_fixed_size: 1344
    .kernarg_segment_align: 8
    .kernarg_segment_size: 280
    .language:       OpenCL C
    .language_version:
      - 2
      - 0
    .max_flat_workgroup_size: 162
    .name:           _Z11rank_kernelILj162ELj2ELj6ELb1EL18RadixRankAlgorithm2EjEvPKT4_Pijj
    .private_segment_fixed_size: 0
    .sgpr_count:     16
    .sgpr_spill_count: 0
    .symbol:         _Z11rank_kernelILj162ELj2ELj6ELb1EL18RadixRankAlgorithm2EjEvPKT4_Pijj.kd
    .uniform_work_group_size: 1
    .uses_dynamic_stack: false
    .vgpr_count:     19
    .vgpr_spill_count: 0
    .wavefront_size: 64
  - .args:
      - .address_space:  global
        .offset:         0
        .size:           8
        .value_kind:     global_buffer
      - .address_space:  global
        .offset:         8
        .size:           8
        .value_kind:     global_buffer
      - .offset:         16
        .size:           4
        .value_kind:     by_value
      - .offset:         20
        .size:           4
        .value_kind:     by_value
      - .offset:         24
        .size:           4
        .value_kind:     hidden_block_count_x
      - .offset:         28
        .size:           4
        .value_kind:     hidden_block_count_y
      - .offset:         32
        .size:           4
        .value_kind:     hidden_block_count_z
      - .offset:         36
        .size:           2
        .value_kind:     hidden_group_size_x
      - .offset:         38
        .size:           2
        .value_kind:     hidden_group_size_y
      - .offset:         40
        .size:           2
        .value_kind:     hidden_group_size_z
      - .offset:         42
        .size:           2
        .value_kind:     hidden_remainder_x
      - .offset:         44
        .size:           2
        .value_kind:     hidden_remainder_y
      - .offset:         46
        .size:           2
        .value_kind:     hidden_remainder_z
      - .offset:         64
        .size:           8
        .value_kind:     hidden_global_offset_x
      - .offset:         72
        .size:           8
        .value_kind:     hidden_global_offset_y
      - .offset:         80
        .size:           8
        .value_kind:     hidden_global_offset_z
      - .offset:         88
        .size:           2
        .value_kind:     hidden_grid_dims
    .group_segment_fixed_size: 256
    .kernarg_segment_align: 8
    .kernarg_segment_size: 280
    .language:       OpenCL C
    .language_version:
      - 2
      - 0
    .max_flat_workgroup_size: 60
    .name:           _Z11rank_kernelILj60ELj1ELj3ELb1EL18RadixRankAlgorithm2EfEvPKT4_Pijj
    .private_segment_fixed_size: 0
    .sgpr_count:     14
    .sgpr_spill_count: 0
    .symbol:         _Z11rank_kernelILj60ELj1ELj3ELb1EL18RadixRankAlgorithm2EfEvPKT4_Pijj.kd
    .uniform_work_group_size: 1
    .uses_dynamic_stack: false
    .vgpr_count:     11
    .vgpr_spill_count: 0
    .wavefront_size: 64
  - .args:
      - .address_space:  global
        .offset:         0
        .size:           8
        .value_kind:     global_buffer
      - .address_space:  global
        .offset:         8
        .size:           8
        .value_kind:     global_buffer
      - .offset:         16
        .size:           4
        .value_kind:     by_value
      - .offset:         20
        .size:           4
        .value_kind:     by_value
      - .offset:         24
        .size:           4
        .value_kind:     hidden_block_count_x
      - .offset:         28
        .size:           4
        .value_kind:     hidden_block_count_y
      - .offset:         32
        .size:           4
        .value_kind:     hidden_block_count_z
      - .offset:         36
        .size:           2
        .value_kind:     hidden_group_size_x
      - .offset:         38
        .size:           2
        .value_kind:     hidden_group_size_y
      - .offset:         40
        .size:           2
        .value_kind:     hidden_group_size_z
      - .offset:         42
        .size:           2
        .value_kind:     hidden_remainder_x
      - .offset:         44
        .size:           2
        .value_kind:     hidden_remainder_y
      - .offset:         46
        .size:           2
        .value_kind:     hidden_remainder_z
      - .offset:         64
        .size:           8
        .value_kind:     hidden_global_offset_x
      - .offset:         72
        .size:           8
        .value_kind:     hidden_global_offset_y
      - .offset:         80
        .size:           8
        .value_kind:     hidden_global_offset_z
      - .offset:         88
        .size:           2
        .value_kind:     hidden_grid_dims
    .group_segment_fixed_size: 1232
    .kernarg_segment_align: 8
    .kernarg_segment_size: 280
    .language:       OpenCL C
    .language_version:
      - 2
      - 0
    .max_flat_workgroup_size: 102
    .name:           _Z11rank_kernelILj102ELj3ELj3ELb1EL18RadixRankAlgorithm2EtEvPKT4_Pijj
    .private_segment_fixed_size: 0
    .sgpr_count:     16
    .sgpr_spill_count: 0
    .symbol:         _Z11rank_kernelILj102ELj3ELj3ELb1EL18RadixRankAlgorithm2EtEvPKT4_Pijj.kd
    .uniform_work_group_size: 1
    .uses_dynamic_stack: false
    .vgpr_count:     23
    .vgpr_spill_count: 0
    .wavefront_size: 64
  - .args:
      - .address_space:  global
        .offset:         0
        .size:           8
        .value_kind:     global_buffer
      - .address_space:  global
        .offset:         8
        .size:           8
        .value_kind:     global_buffer
      - .offset:         16
        .size:           4
        .value_kind:     by_value
      - .offset:         20
        .size:           4
        .value_kind:     by_value
      - .offset:         24
        .size:           4
        .value_kind:     hidden_block_count_x
      - .offset:         28
        .size:           4
        .value_kind:     hidden_block_count_y
      - .offset:         32
        .size:           4
        .value_kind:     hidden_block_count_z
      - .offset:         36
        .size:           2
        .value_kind:     hidden_group_size_x
      - .offset:         38
        .size:           2
        .value_kind:     hidden_group_size_y
      - .offset:         40
        .size:           2
        .value_kind:     hidden_group_size_z
      - .offset:         42
        .size:           2
        .value_kind:     hidden_remainder_x
      - .offset:         44
        .size:           2
        .value_kind:     hidden_remainder_y
      - .offset:         46
        .size:           2
        .value_kind:     hidden_remainder_z
      - .offset:         64
        .size:           8
        .value_kind:     hidden_global_offset_x
      - .offset:         72
        .size:           8
        .value_kind:     hidden_global_offset_y
      - .offset:         80
        .size:           8
        .value_kind:     hidden_global_offset_z
      - .offset:         88
        .size:           2
        .value_kind:     hidden_grid_dims
    .group_segment_fixed_size: 512
    .kernarg_segment_align: 8
    .kernarg_segment_size: 280
    .language:       OpenCL C
    .language_version:
      - 2
      - 0
    .max_flat_workgroup_size: 64
    .name:           _Z11rank_kernelILj64ELj1ELj5ELb0EL18RadixRankAlgorithm2EyEvPKT4_Pijj
    .private_segment_fixed_size: 0
    .sgpr_count:     16
    .sgpr_spill_count: 0
    .symbol:         _Z11rank_kernelILj64ELj1ELj5ELb0EL18RadixRankAlgorithm2EyEvPKT4_Pijj.kd
    .uniform_work_group_size: 1
    .uses_dynamic_stack: false
    .vgpr_count:     11
    .vgpr_spill_count: 0
    .wavefront_size: 64
  - .args:
      - .address_space:  global
        .offset:         0
        .size:           8
        .value_kind:     global_buffer
      - .address_space:  global
        .offset:         8
        .size:           8
        .value_kind:     global_buffer
      - .offset:         16
        .size:           4
        .value_kind:     by_value
      - .offset:         20
        .size:           4
        .value_kind:     by_value
      - .offset:         24
        .size:           4
        .value_kind:     hidden_block_count_x
      - .offset:         28
        .size:           4
        .value_kind:     hidden_block_count_y
      - .offset:         32
        .size:           4
        .value_kind:     hidden_block_count_z
      - .offset:         36
        .size:           2
        .value_kind:     hidden_group_size_x
      - .offset:         38
        .size:           2
        .value_kind:     hidden_group_size_y
      - .offset:         40
        .size:           2
        .value_kind:     hidden_group_size_z
      - .offset:         42
        .size:           2
        .value_kind:     hidden_remainder_x
      - .offset:         44
        .size:           2
        .value_kind:     hidden_remainder_y
      - .offset:         46
        .size:           2
        .value_kind:     hidden_remainder_z
      - .offset:         64
        .size:           8
        .value_kind:     hidden_global_offset_x
      - .offset:         72
        .size:           8
        .value_kind:     hidden_global_offset_y
      - .offset:         80
        .size:           8
        .value_kind:     hidden_global_offset_z
      - .offset:         88
        .size:           2
        .value_kind:     hidden_grid_dims
    .group_segment_fixed_size: 8432
    .kernarg_segment_align: 8
    .kernarg_segment_size: 280
    .language:       OpenCL C
    .language_version:
      - 2
      - 0
    .max_flat_workgroup_size: 234
    .name:           _Z11rank_kernelILj234ELj9ELj4ELb0EL18RadixRankAlgorithm2E12hip_bfloat16EvPKT4_Pijj
    .private_segment_fixed_size: 0
    .sgpr_count:     18
    .sgpr_spill_count: 0
    .symbol:         _Z11rank_kernelILj234ELj9ELj4ELb0EL18RadixRankAlgorithm2E12hip_bfloat16EvPKT4_Pijj.kd
    .uniform_work_group_size: 1
    .uses_dynamic_stack: false
    .vgpr_count:     40
    .vgpr_spill_count: 0
    .wavefront_size: 64
  - .args:
      - .address_space:  global
        .offset:         0
        .size:           8
        .value_kind:     global_buffer
      - .address_space:  global
        .offset:         8
        .size:           8
        .value_kind:     global_buffer
      - .offset:         16
        .size:           4
        .value_kind:     by_value
      - .offset:         20
        .size:           4
        .value_kind:     by_value
      - .offset:         24
        .size:           4
        .value_kind:     hidden_block_count_x
      - .offset:         28
        .size:           4
        .value_kind:     hidden_block_count_y
      - .offset:         32
        .size:           4
        .value_kind:     hidden_block_count_z
      - .offset:         36
        .size:           2
        .value_kind:     hidden_group_size_x
      - .offset:         38
        .size:           2
        .value_kind:     hidden_group_size_y
      - .offset:         40
        .size:           2
        .value_kind:     hidden_group_size_z
      - .offset:         42
        .size:           2
        .value_kind:     hidden_remainder_x
      - .offset:         44
        .size:           2
        .value_kind:     hidden_remainder_y
      - .offset:         46
        .size:           2
        .value_kind:     hidden_remainder_z
      - .offset:         64
        .size:           8
        .value_kind:     hidden_global_offset_x
      - .offset:         72
        .size:           8
        .value_kind:     hidden_global_offset_y
      - .offset:         80
        .size:           8
        .value_kind:     hidden_global_offset_z
      - .offset:         88
        .size:           2
        .value_kind:     hidden_grid_dims
    .group_segment_fixed_size: 8432
    .kernarg_segment_align: 8
    .kernarg_segment_size: 280
    .language:       OpenCL C
    .language_version:
      - 2
      - 0
    .max_flat_workgroup_size: 234
    .name:           _Z11rank_kernelILj234ELj9ELj4ELb0EL18RadixRankAlgorithm2E6__halfEvPKT4_Pijj
    .private_segment_fixed_size: 0
    .sgpr_count:     18
    .sgpr_spill_count: 0
    .symbol:         _Z11rank_kernelILj234ELj9ELj4ELb0EL18RadixRankAlgorithm2E6__halfEvPKT4_Pijj.kd
    .uniform_work_group_size: 1
    .uses_dynamic_stack: false
    .vgpr_count:     40
    .vgpr_spill_count: 0
    .wavefront_size: 64
  - .args:
      - .address_space:  global
        .offset:         0
        .size:           8
        .value_kind:     global_buffer
      - .address_space:  global
        .offset:         8
        .size:           8
        .value_kind:     global_buffer
      - .offset:         16
        .size:           4
        .value_kind:     by_value
      - .offset:         20
        .size:           4
        .value_kind:     by_value
      - .offset:         24
        .size:           4
        .value_kind:     hidden_block_count_x
      - .offset:         28
        .size:           4
        .value_kind:     hidden_block_count_y
      - .offset:         32
        .size:           4
        .value_kind:     hidden_block_count_z
      - .offset:         36
        .size:           2
        .value_kind:     hidden_group_size_x
      - .offset:         38
        .size:           2
        .value_kind:     hidden_group_size_y
      - .offset:         40
        .size:           2
        .value_kind:     hidden_group_size_z
      - .offset:         42
        .size:           2
        .value_kind:     hidden_remainder_x
      - .offset:         44
        .size:           2
        .value_kind:     hidden_remainder_y
      - .offset:         46
        .size:           2
        .value_kind:     hidden_remainder_z
      - .offset:         64
        .size:           8
        .value_kind:     hidden_global_offset_x
      - .offset:         72
        .size:           8
        .value_kind:     hidden_global_offset_y
      - .offset:         80
        .size:           8
        .value_kind:     hidden_global_offset_z
      - .offset:         88
        .size:           2
        .value_kind:     hidden_grid_dims
    .group_segment_fixed_size: 1200
    .kernarg_segment_align: 8
    .kernarg_segment_size: 280
    .language:       OpenCL C
    .language_version:
      - 2
      - 0
    .max_flat_workgroup_size: 100
    .name:           _Z11rank_kernelILj100ELj3ELj4ELb0EL18RadixRankAlgorithm2EtEvPKT4_Pijj
    .private_segment_fixed_size: 0
    .sgpr_count:     16
    .sgpr_spill_count: 0
    .symbol:         _Z11rank_kernelILj100ELj3ELj4ELb0EL18RadixRankAlgorithm2EtEvPKT4_Pijj.kd
    .uniform_work_group_size: 1
    .uses_dynamic_stack: false
    .vgpr_count:     23
    .vgpr_spill_count: 0
    .wavefront_size: 64
  - .args:
      - .address_space:  global
        .offset:         0
        .size:           8
        .value_kind:     global_buffer
      - .address_space:  global
        .offset:         8
        .size:           8
        .value_kind:     global_buffer
      - .offset:         16
        .size:           4
        .value_kind:     by_value
      - .offset:         20
        .size:           4
        .value_kind:     by_value
      - .offset:         24
        .size:           4
        .value_kind:     hidden_block_count_x
      - .offset:         28
        .size:           4
        .value_kind:     hidden_block_count_y
      - .offset:         32
        .size:           4
        .value_kind:     hidden_block_count_z
      - .offset:         36
        .size:           2
        .value_kind:     hidden_group_size_x
      - .offset:         38
        .size:           2
        .value_kind:     hidden_group_size_y
      - .offset:         40
        .size:           2
        .value_kind:     hidden_group_size_z
      - .offset:         42
        .size:           2
        .value_kind:     hidden_remainder_x
      - .offset:         44
        .size:           2
        .value_kind:     hidden_remainder_y
      - .offset:         46
        .size:           2
        .value_kind:     hidden_remainder_z
      - .offset:         64
        .size:           8
        .value_kind:     hidden_global_offset_x
      - .offset:         72
        .size:           8
        .value_kind:     hidden_global_offset_y
      - .offset:         80
        .size:           8
        .value_kind:     hidden_global_offset_z
      - .offset:         88
        .size:           2
        .value_kind:     hidden_grid_dims
    .group_segment_fixed_size: 3840
    .kernarg_segment_align: 8
    .kernarg_segment_size: 280
    .language:       OpenCL C
    .language_version:
      - 2
      - 0
    .max_flat_workgroup_size: 464
    .name:           _Z11rank_kernelILj464ELj2ELj4ELb1EL18RadixRankAlgorithm2EcEvPKT4_Pijj
    .private_segment_fixed_size: 0
    .sgpr_count:     16
    .sgpr_spill_count: 0
    .symbol:         _Z11rank_kernelILj464ELj2ELj4ELb1EL18RadixRankAlgorithm2EcEvPKT4_Pijj.kd
    .uniform_work_group_size: 1
    .uses_dynamic_stack: false
    .vgpr_count:     22
    .vgpr_spill_count: 0
    .wavefront_size: 64
  - .args:
      - .address_space:  global
        .offset:         0
        .size:           8
        .value_kind:     global_buffer
      - .address_space:  global
        .offset:         8
        .size:           8
        .value_kind:     global_buffer
      - .offset:         16
        .size:           4
        .value_kind:     by_value
      - .offset:         20
        .size:           4
        .value_kind:     by_value
      - .offset:         24
        .size:           4
        .value_kind:     hidden_block_count_x
      - .offset:         28
        .size:           4
        .value_kind:     hidden_block_count_y
      - .offset:         32
        .size:           4
        .value_kind:     hidden_block_count_z
      - .offset:         36
        .size:           2
        .value_kind:     hidden_group_size_x
      - .offset:         38
        .size:           2
        .value_kind:     hidden_group_size_y
      - .offset:         40
        .size:           2
        .value_kind:     hidden_group_size_z
      - .offset:         42
        .size:           2
        .value_kind:     hidden_remainder_x
      - .offset:         44
        .size:           2
        .value_kind:     hidden_remainder_y
      - .offset:         46
        .size:           2
        .value_kind:     hidden_remainder_z
      - .offset:         64
        .size:           8
        .value_kind:     hidden_global_offset_x
      - .offset:         72
        .size:           8
        .value_kind:     hidden_global_offset_y
      - .offset:         80
        .size:           8
        .value_kind:     hidden_global_offset_z
      - .offset:         88
        .size:           2
        .value_kind:     hidden_grid_dims
    .group_segment_fixed_size: 1328
    .kernarg_segment_align: 8
    .kernarg_segment_size: 280
    .language:       OpenCL C
    .language_version:
      - 2
      - 0
    .max_flat_workgroup_size: 33
    .name:           _Z11rank_kernelILj33ELj5ELj4ELb0EL18RadixRankAlgorithm2EdEvPKT4_Pijj
    .private_segment_fixed_size: 0
    .sgpr_count:     18
    .sgpr_spill_count: 0
    .symbol:         _Z11rank_kernelILj33ELj5ELj4ELb0EL18RadixRankAlgorithm2EdEvPKT4_Pijj.kd
    .uniform_work_group_size: 1
    .uses_dynamic_stack: false
    .vgpr_count:     25
    .vgpr_spill_count: 0
    .wavefront_size: 64
  - .args:
      - .address_space:  global
        .offset:         0
        .size:           8
        .value_kind:     global_buffer
      - .address_space:  global
        .offset:         8
        .size:           8
        .value_kind:     global_buffer
      - .offset:         16
        .size:           4
        .value_kind:     by_value
      - .offset:         20
        .size:           4
        .value_kind:     by_value
      - .offset:         24
        .size:           4
        .value_kind:     hidden_block_count_x
      - .offset:         28
        .size:           4
        .value_kind:     hidden_block_count_y
      - .offset:         32
        .size:           4
        .value_kind:     hidden_block_count_z
      - .offset:         36
        .size:           2
        .value_kind:     hidden_group_size_x
      - .offset:         38
        .size:           2
        .value_kind:     hidden_group_size_y
      - .offset:         40
        .size:           2
        .value_kind:     hidden_group_size_z
      - .offset:         42
        .size:           2
        .value_kind:     hidden_remainder_x
      - .offset:         44
        .size:           2
        .value_kind:     hidden_remainder_y
      - .offset:         46
        .size:           2
        .value_kind:     hidden_remainder_z
      - .offset:         64
        .size:           8
        .value_kind:     hidden_global_offset_x
      - .offset:         72
        .size:           8
        .value_kind:     hidden_global_offset_y
      - .offset:         80
        .size:           8
        .value_kind:     hidden_global_offset_z
      - .offset:         88
        .size:           2
        .value_kind:     hidden_grid_dims
    .group_segment_fixed_size: 4224
    .kernarg_segment_align: 8
    .kernarg_segment_size: 280
    .language:       OpenCL C
    .language_version:
      - 2
      - 0
    .max_flat_workgroup_size: 512
    .name:           _Z11rank_kernelILj512ELj2ELj4ELb0EL18RadixRankAlgorithm2EfEvPKT4_Pijj
    .private_segment_fixed_size: 0
    .sgpr_count:     18
    .sgpr_spill_count: 0
    .symbol:         _Z11rank_kernelILj512ELj2ELj4ELb0EL18RadixRankAlgorithm2EfEvPKT4_Pijj.kd
    .uniform_work_group_size: 1
    .uses_dynamic_stack: false
    .vgpr_count:     19
    .vgpr_spill_count: 0
    .wavefront_size: 64
  - .args:
      - .address_space:  global
        .offset:         0
        .size:           8
        .value_kind:     global_buffer
      - .address_space:  global
        .offset:         8
        .size:           8
        .value_kind:     global_buffer
      - .offset:         16
        .size:           4
        .value_kind:     by_value
      - .offset:         20
        .size:           4
        .value_kind:     by_value
      - .offset:         24
        .size:           4
        .value_kind:     hidden_block_count_x
      - .offset:         28
        .size:           4
        .value_kind:     hidden_block_count_y
      - .offset:         32
        .size:           4
        .value_kind:     hidden_block_count_z
      - .offset:         36
        .size:           2
        .value_kind:     hidden_group_size_x
      - .offset:         38
        .size:           2
        .value_kind:     hidden_group_size_y
      - .offset:         40
        .size:           2
        .value_kind:     hidden_group_size_z
      - .offset:         42
        .size:           2
        .value_kind:     hidden_remainder_x
      - .offset:         44
        .size:           2
        .value_kind:     hidden_remainder_y
      - .offset:         46
        .size:           2
        .value_kind:     hidden_remainder_z
      - .offset:         64
        .size:           8
        .value_kind:     hidden_global_offset_x
      - .offset:         72
        .size:           8
        .value_kind:     hidden_global_offset_y
      - .offset:         80
        .size:           8
        .value_kind:     hidden_global_offset_z
      - .offset:         88
        .size:           2
        .value_kind:     hidden_grid_dims
    .group_segment_fixed_size: 7168
    .kernarg_segment_align: 8
    .kernarg_segment_size: 280
    .language:       OpenCL C
    .language_version:
      - 2
      - 0
    .max_flat_workgroup_size: 256
    .name:           _Z11rank_kernelILj256ELj7ELj4ELb0EL18RadixRankAlgorithm2EtEvPKT4_Pijj
    .private_segment_fixed_size: 0
    .sgpr_count:     16
    .sgpr_spill_count: 0
    .symbol:         _Z11rank_kernelILj256ELj7ELj4ELb0EL18RadixRankAlgorithm2EtEvPKT4_Pijj.kd
    .uniform_work_group_size: 1
    .uses_dynamic_stack: false
    .vgpr_count:     33
    .vgpr_spill_count: 0
    .wavefront_size: 64
  - .args:
      - .address_space:  global
        .offset:         0
        .size:           8
        .value_kind:     global_buffer
      - .address_space:  global
        .offset:         8
        .size:           8
        .value_kind:     global_buffer
      - .offset:         16
        .size:           4
        .value_kind:     by_value
      - .offset:         20
        .size:           4
        .value_kind:     by_value
      - .offset:         24
        .size:           4
        .value_kind:     hidden_block_count_x
      - .offset:         28
        .size:           4
        .value_kind:     hidden_block_count_y
      - .offset:         32
        .size:           4
        .value_kind:     hidden_block_count_z
      - .offset:         36
        .size:           2
        .value_kind:     hidden_group_size_x
      - .offset:         38
        .size:           2
        .value_kind:     hidden_group_size_y
      - .offset:         40
        .size:           2
        .value_kind:     hidden_group_size_z
      - .offset:         42
        .size:           2
        .value_kind:     hidden_remainder_x
      - .offset:         44
        .size:           2
        .value_kind:     hidden_remainder_y
      - .offset:         46
        .size:           2
        .value_kind:     hidden_remainder_z
      - .offset:         64
        .size:           8
        .value_kind:     hidden_global_offset_x
      - .offset:         72
        .size:           8
        .value_kind:     hidden_global_offset_y
      - .offset:         80
        .size:           8
        .value_kind:     hidden_global_offset_z
      - .offset:         88
        .size:           2
        .value_kind:     hidden_grid_dims
    .group_segment_fixed_size: 2112
    .kernarg_segment_align: 8
    .kernarg_segment_size: 280
    .language:       OpenCL C
    .language_version:
      - 2
      - 0
    .max_flat_workgroup_size: 128
    .name:           _Z11rank_kernelILj128ELj4ELj4ELb0EL18RadixRankAlgorithm2EiEvPKT4_Pijj
    .private_segment_fixed_size: 0
    .sgpr_count:     16
    .sgpr_spill_count: 0
    .symbol:         _Z11rank_kernelILj128ELj4ELj4ELb0EL18RadixRankAlgorithm2EiEvPKT4_Pijj.kd
    .uniform_work_group_size: 1
    .uses_dynamic_stack: false
    .vgpr_count:     25
    .vgpr_spill_count: 0
    .wavefront_size: 64
  - .args:
      - .address_space:  global
        .offset:         0
        .size:           8
        .value_kind:     global_buffer
      - .address_space:  global
        .offset:         8
        .size:           8
        .value_kind:     global_buffer
      - .offset:         16
        .size:           4
        .value_kind:     by_value
      - .offset:         20
        .size:           4
        .value_kind:     by_value
      - .offset:         24
        .size:           4
        .value_kind:     hidden_block_count_x
      - .offset:         28
        .size:           4
        .value_kind:     hidden_block_count_y
      - .offset:         32
        .size:           4
        .value_kind:     hidden_block_count_z
      - .offset:         36
        .size:           2
        .value_kind:     hidden_group_size_x
      - .offset:         38
        .size:           2
        .value_kind:     hidden_group_size_y
      - .offset:         40
        .size:           2
        .value_kind:     hidden_group_size_z
      - .offset:         42
        .size:           2
        .value_kind:     hidden_remainder_x
      - .offset:         44
        .size:           2
        .value_kind:     hidden_remainder_y
      - .offset:         46
        .size:           2
        .value_kind:     hidden_remainder_z
      - .offset:         64
        .size:           8
        .value_kind:     hidden_global_offset_x
      - .offset:         72
        .size:           8
        .value_kind:     hidden_global_offset_y
      - .offset:         80
        .size:           8
        .value_kind:     hidden_global_offset_z
      - .offset:         88
        .size:           2
        .value_kind:     hidden_grid_dims
    .group_segment_fixed_size: 1056
    .kernarg_segment_align: 8
    .kernarg_segment_size: 280
    .language:       OpenCL C
    .language_version:
      - 2
      - 0
    .max_flat_workgroup_size: 64
    .name:           _Z11rank_kernelILj64ELj2ELj4ELb1EL18RadixRankAlgorithm2EyEvPKT4_Pijj
    .private_segment_fixed_size: 0
    .sgpr_count:     16
    .sgpr_spill_count: 0
    .symbol:         _Z11rank_kernelILj64ELj2ELj4ELb1EL18RadixRankAlgorithm2EyEvPKT4_Pijj.kd
    .uniform_work_group_size: 1
    .uses_dynamic_stack: false
    .vgpr_count:     17
    .vgpr_spill_count: 0
    .wavefront_size: 64
  - .args:
      - .address_space:  global
        .offset:         0
        .size:           8
        .value_kind:     global_buffer
      - .address_space:  global
        .offset:         8
        .size:           8
        .value_kind:     global_buffer
      - .offset:         16
        .size:           4
        .value_kind:     by_value
      - .offset:         20
        .size:           4
        .value_kind:     by_value
      - .offset:         24
        .size:           4
        .value_kind:     hidden_block_count_x
      - .offset:         28
        .size:           4
        .value_kind:     hidden_block_count_y
      - .offset:         32
        .size:           4
        .value_kind:     hidden_block_count_z
      - .offset:         36
        .size:           2
        .value_kind:     hidden_group_size_x
      - .offset:         38
        .size:           2
        .value_kind:     hidden_group_size_y
      - .offset:         40
        .size:           2
        .value_kind:     hidden_group_size_z
      - .offset:         42
        .size:           2
        .value_kind:     hidden_remainder_x
      - .offset:         44
        .size:           2
        .value_kind:     hidden_remainder_y
      - .offset:         46
        .size:           2
        .value_kind:     hidden_remainder_z
      - .offset:         64
        .size:           8
        .value_kind:     hidden_global_offset_x
      - .offset:         72
        .size:           8
        .value_kind:     hidden_global_offset_y
      - .offset:         80
        .size:           8
        .value_kind:     hidden_global_offset_z
      - .offset:         88
        .size:           2
        .value_kind:     hidden_grid_dims
    .group_segment_fixed_size: 1040
    .kernarg_segment_align: 8
    .kernarg_segment_size: 280
    .language:       OpenCL C
    .language_version:
      - 2
      - 0
    .max_flat_workgroup_size: 255
    .name:           _Z11rank_kernelILj255ELj1ELj4ELb0EL18RadixRankAlgorithm2EhEvPKT4_Pijj
    .private_segment_fixed_size: 0
    .sgpr_count:     14
    .sgpr_spill_count: 0
    .symbol:         _Z11rank_kernelILj255ELj1ELj4ELb0EL18RadixRankAlgorithm2EhEvPKT4_Pijj.kd
    .uniform_work_group_size: 1
    .uses_dynamic_stack: false
    .vgpr_count:     14
    .vgpr_spill_count: 0
    .wavefront_size: 64
  - .args:
      - .address_space:  global
        .offset:         0
        .size:           8
        .value_kind:     global_buffer
      - .address_space:  global
        .offset:         8
        .size:           8
        .value_kind:     global_buffer
      - .offset:         16
        .size:           4
        .value_kind:     by_value
      - .offset:         20
        .size:           4
        .value_kind:     by_value
      - .offset:         24
        .size:           4
        .value_kind:     hidden_block_count_x
      - .offset:         28
        .size:           4
        .value_kind:     hidden_block_count_y
      - .offset:         32
        .size:           4
        .value_kind:     hidden_block_count_z
      - .offset:         36
        .size:           2
        .value_kind:     hidden_group_size_x
      - .offset:         38
        .size:           2
        .value_kind:     hidden_group_size_y
      - .offset:         40
        .size:           2
        .value_kind:     hidden_group_size_z
      - .offset:         42
        .size:           2
        .value_kind:     hidden_remainder_x
      - .offset:         44
        .size:           2
        .value_kind:     hidden_remainder_y
      - .offset:         46
        .size:           2
        .value_kind:     hidden_remainder_z
      - .offset:         64
        .size:           8
        .value_kind:     hidden_global_offset_x
      - .offset:         72
        .size:           8
        .value_kind:     hidden_global_offset_y
      - .offset:         80
        .size:           8
        .value_kind:     hidden_global_offset_z
      - .offset:         88
        .size:           2
        .value_kind:     hidden_grid_dims
    .group_segment_fixed_size: 672
    .kernarg_segment_align: 8
    .kernarg_segment_size: 280
    .language:       OpenCL C
    .language_version:
      - 2
      - 0
    .max_flat_workgroup_size: 162
    .name:           _Z11rank_kernelILj162ELj1ELj4ELb0EL18RadixRankAlgorithm2EjEvPKT4_Pijj
    .private_segment_fixed_size: 0
    .sgpr_count:     14
    .sgpr_spill_count: 0
    .symbol:         _Z11rank_kernelILj162ELj1ELj4ELb0EL18RadixRankAlgorithm2EjEvPKT4_Pijj.kd
    .uniform_work_group_size: 1
    .uses_dynamic_stack: false
    .vgpr_count:     14
    .vgpr_spill_count: 0
    .wavefront_size: 64
  - .args:
      - .address_space:  global
        .offset:         0
        .size:           8
        .value_kind:     global_buffer
      - .address_space:  global
        .offset:         8
        .size:           8
        .value_kind:     global_buffer
      - .offset:         16
        .size:           4
        .value_kind:     by_value
      - .offset:         20
        .size:           4
        .value_kind:     by_value
      - .offset:         24
        .size:           4
        .value_kind:     hidden_block_count_x
      - .offset:         28
        .size:           4
        .value_kind:     hidden_block_count_y
      - .offset:         32
        .size:           4
        .value_kind:     hidden_block_count_z
      - .offset:         36
        .size:           2
        .value_kind:     hidden_group_size_x
      - .offset:         38
        .size:           2
        .value_kind:     hidden_group_size_y
      - .offset:         40
        .size:           2
        .value_kind:     hidden_group_size_z
      - .offset:         42
        .size:           2
        .value_kind:     hidden_remainder_x
      - .offset:         44
        .size:           2
        .value_kind:     hidden_remainder_y
      - .offset:         46
        .size:           2
        .value_kind:     hidden_remainder_z
      - .offset:         64
        .size:           8
        .value_kind:     hidden_global_offset_x
      - .offset:         72
        .size:           8
        .value_kind:     hidden_global_offset_y
      - .offset:         80
        .size:           8
        .value_kind:     hidden_global_offset_z
      - .offset:         88
        .size:           2
        .value_kind:     hidden_grid_dims
    .group_segment_fixed_size: 4080
    .kernarg_segment_align: 8
    .kernarg_segment_size: 280
    .language:       OpenCL C
    .language_version:
      - 2
      - 0
    .max_flat_workgroup_size: 510
    .name:           _Z11rank_kernelILj510ELj1ELj4ELb1EL18RadixRankAlgorithm2ExEvPKT4_Pijj
    .private_segment_fixed_size: 0
    .sgpr_count:     16
    .sgpr_spill_count: 0
    .symbol:         _Z11rank_kernelILj510ELj1ELj4ELb1EL18RadixRankAlgorithm2ExEvPKT4_Pijj.kd
    .uniform_work_group_size: 1
    .uses_dynamic_stack: false
    .vgpr_count:     13
    .vgpr_spill_count: 0
    .wavefront_size: 64
  - .args:
      - .address_space:  global
        .offset:         0
        .size:           8
        .value_kind:     global_buffer
      - .address_space:  global
        .offset:         8
        .size:           8
        .value_kind:     global_buffer
      - .offset:         16
        .size:           4
        .value_kind:     by_value
      - .offset:         20
        .size:           4
        .value_kind:     by_value
      - .offset:         24
        .size:           4
        .value_kind:     hidden_block_count_x
      - .offset:         28
        .size:           4
        .value_kind:     hidden_block_count_y
      - .offset:         32
        .size:           4
        .value_kind:     hidden_block_count_z
      - .offset:         36
        .size:           2
        .value_kind:     hidden_group_size_x
      - .offset:         38
        .size:           2
        .value_kind:     hidden_group_size_y
      - .offset:         40
        .size:           2
        .value_kind:     hidden_group_size_z
      - .offset:         42
        .size:           2
        .value_kind:     hidden_remainder_x
      - .offset:         44
        .size:           2
        .value_kind:     hidden_remainder_y
      - .offset:         46
        .size:           2
        .value_kind:     hidden_remainder_z
      - .offset:         64
        .size:           8
        .value_kind:     hidden_global_offset_x
      - .offset:         72
        .size:           8
        .value_kind:     hidden_global_offset_y
      - .offset:         80
        .size:           8
        .value_kind:     hidden_global_offset_z
      - .offset:         88
        .size:           2
        .value_kind:     hidden_grid_dims
    .group_segment_fixed_size: 160
    .kernarg_segment_align: 8
    .kernarg_segment_size: 280
    .language:       OpenCL C
    .language_version:
      - 2
      - 0
    .max_flat_workgroup_size: 37
    .name:           _Z11rank_kernelILj37ELj1ELj4ELb0EL18RadixRankAlgorithm2EfEvPKT4_Pijj
    .private_segment_fixed_size: 0
    .sgpr_count:     14
    .sgpr_spill_count: 0
    .symbol:         _Z11rank_kernelILj37ELj1ELj4ELb0EL18RadixRankAlgorithm2EfEvPKT4_Pijj.kd
    .uniform_work_group_size: 1
    .uses_dynamic_stack: false
    .vgpr_count:     12
    .vgpr_spill_count: 0
    .wavefront_size: 64
  - .args:
      - .address_space:  global
        .offset:         0
        .size:           8
        .value_kind:     global_buffer
      - .address_space:  global
        .offset:         8
        .size:           8
        .value_kind:     global_buffer
      - .offset:         16
        .size:           4
        .value_kind:     by_value
      - .offset:         20
        .size:           4
        .value_kind:     by_value
      - .offset:         24
        .size:           4
        .value_kind:     hidden_block_count_x
      - .offset:         28
        .size:           4
        .value_kind:     hidden_block_count_y
      - .offset:         32
        .size:           4
        .value_kind:     hidden_block_count_z
      - .offset:         36
        .size:           2
        .value_kind:     hidden_group_size_x
      - .offset:         38
        .size:           2
        .value_kind:     hidden_group_size_y
      - .offset:         40
        .size:           2
        .value_kind:     hidden_group_size_z
      - .offset:         42
        .size:           2
        .value_kind:     hidden_remainder_x
      - .offset:         44
        .size:           2
        .value_kind:     hidden_remainder_y
      - .offset:         46
        .size:           2
        .value_kind:     hidden_remainder_z
      - .offset:         64
        .size:           8
        .value_kind:     hidden_global_offset_x
      - .offset:         72
        .size:           8
        .value_kind:     hidden_global_offset_y
      - .offset:         80
        .size:           8
        .value_kind:     hidden_global_offset_z
      - .offset:         88
        .size:           2
        .value_kind:     hidden_grid_dims
    .group_segment_fixed_size: 528
    .kernarg_segment_align: 8
    .kernarg_segment_size: 280
    .language:       OpenCL C
    .language_version:
      - 2
      - 0
    .max_flat_workgroup_size: 65
    .name:           _Z11rank_kernelILj65ELj1ELj4ELb0EL18RadixRankAlgorithm2EdEvPKT4_Pijj
    .private_segment_fixed_size: 0
    .sgpr_count:     16
    .sgpr_spill_count: 0
    .symbol:         _Z11rank_kernelILj65ELj1ELj4ELb0EL18RadixRankAlgorithm2EdEvPKT4_Pijj.kd
    .uniform_work_group_size: 1
    .uses_dynamic_stack: false
    .vgpr_count:     13
    .vgpr_spill_count: 0
    .wavefront_size: 64
  - .args:
      - .address_space:  global
        .offset:         0
        .size:           8
        .value_kind:     global_buffer
      - .address_space:  global
        .offset:         8
        .size:           8
        .value_kind:     global_buffer
      - .offset:         16
        .size:           4
        .value_kind:     by_value
      - .offset:         20
        .size:           4
        .value_kind:     by_value
      - .offset:         24
        .size:           4
        .value_kind:     hidden_block_count_x
      - .offset:         28
        .size:           4
        .value_kind:     hidden_block_count_y
      - .offset:         32
        .size:           4
        .value_kind:     hidden_block_count_z
      - .offset:         36
        .size:           2
        .value_kind:     hidden_group_size_x
      - .offset:         38
        .size:           2
        .value_kind:     hidden_group_size_y
      - .offset:         40
        .size:           2
        .value_kind:     hidden_group_size_z
      - .offset:         42
        .size:           2
        .value_kind:     hidden_remainder_x
      - .offset:         44
        .size:           2
        .value_kind:     hidden_remainder_y
      - .offset:         46
        .size:           2
        .value_kind:     hidden_remainder_z
      - .offset:         64
        .size:           8
        .value_kind:     hidden_global_offset_x
      - .offset:         72
        .size:           8
        .value_kind:     hidden_global_offset_y
      - .offset:         80
        .size:           8
        .value_kind:     hidden_global_offset_z
      - .offset:         88
        .size:           2
        .value_kind:     hidden_grid_dims
    .group_segment_fixed_size: 2080
    .kernarg_segment_align: 8
    .kernarg_segment_size: 280
    .language:       OpenCL C
    .language_version:
      - 2
      - 0
    .max_flat_workgroup_size: 512
    .name:           _Z11rank_kernelILj512ELj1ELj4ELb1EL18RadixRankAlgorithm2EtEvPKT4_Pijj
    .private_segment_fixed_size: 0
    .sgpr_count:     16
    .sgpr_spill_count: 0
    .symbol:         _Z11rank_kernelILj512ELj1ELj4ELb1EL18RadixRankAlgorithm2EtEvPKT4_Pijj.kd
    .uniform_work_group_size: 1
    .uses_dynamic_stack: false
    .vgpr_count:     15
    .vgpr_spill_count: 0
    .wavefront_size: 64
  - .args:
      - .address_space:  global
        .offset:         0
        .size:           8
        .value_kind:     global_buffer
      - .address_space:  global
        .offset:         8
        .size:           8
        .value_kind:     global_buffer
      - .offset:         16
        .size:           4
        .value_kind:     by_value
      - .offset:         20
        .size:           4
        .value_kind:     by_value
      - .offset:         24
        .size:           4
        .value_kind:     hidden_block_count_x
      - .offset:         28
        .size:           4
        .value_kind:     hidden_block_count_y
      - .offset:         32
        .size:           4
        .value_kind:     hidden_block_count_z
      - .offset:         36
        .size:           2
        .value_kind:     hidden_group_size_x
      - .offset:         38
        .size:           2
        .value_kind:     hidden_group_size_y
      - .offset:         40
        .size:           2
        .value_kind:     hidden_group_size_z
      - .offset:         42
        .size:           2
        .value_kind:     hidden_remainder_x
      - .offset:         44
        .size:           2
        .value_kind:     hidden_remainder_y
      - .offset:         46
        .size:           2
        .value_kind:     hidden_remainder_z
      - .offset:         64
        .size:           8
        .value_kind:     hidden_global_offset_x
      - .offset:         72
        .size:           8
        .value_kind:     hidden_global_offset_y
      - .offset:         80
        .size:           8
        .value_kind:     hidden_global_offset_z
      - .offset:         88
        .size:           2
        .value_kind:     hidden_grid_dims
    .group_segment_fixed_size: 1040
    .kernarg_segment_align: 8
    .kernarg_segment_size: 280
    .language:       OpenCL C
    .language_version:
      - 2
      - 0
    .max_flat_workgroup_size: 256
    .name:           _Z11rank_kernelILj256ELj1ELj4ELb0EL18RadixRankAlgorithm2EfEvPKT4_Pijj
    .private_segment_fixed_size: 0
    .sgpr_count:     15
    .sgpr_spill_count: 0
    .symbol:         _Z11rank_kernelILj256ELj1ELj4ELb0EL18RadixRankAlgorithm2EfEvPKT4_Pijj.kd
    .uniform_work_group_size: 1
    .uses_dynamic_stack: false
    .vgpr_count:     14
    .vgpr_spill_count: 0
    .wavefront_size: 64
  - .args:
      - .address_space:  global
        .offset:         0
        .size:           8
        .value_kind:     global_buffer
      - .address_space:  global
        .offset:         8
        .size:           8
        .value_kind:     global_buffer
      - .offset:         16
        .size:           4
        .value_kind:     by_value
      - .offset:         20
        .size:           4
        .value_kind:     by_value
      - .offset:         24
        .size:           4
        .value_kind:     hidden_block_count_x
      - .offset:         28
        .size:           4
        .value_kind:     hidden_block_count_y
      - .offset:         32
        .size:           4
        .value_kind:     hidden_block_count_z
      - .offset:         36
        .size:           2
        .value_kind:     hidden_group_size_x
      - .offset:         38
        .size:           2
        .value_kind:     hidden_group_size_y
      - .offset:         40
        .size:           2
        .value_kind:     hidden_group_size_z
      - .offset:         42
        .size:           2
        .value_kind:     hidden_remainder_x
      - .offset:         44
        .size:           2
        .value_kind:     hidden_remainder_y
      - .offset:         46
        .size:           2
        .value_kind:     hidden_remainder_z
      - .offset:         64
        .size:           8
        .value_kind:     hidden_global_offset_x
      - .offset:         72
        .size:           8
        .value_kind:     hidden_global_offset_y
      - .offset:         80
        .size:           8
        .value_kind:     hidden_global_offset_z
      - .offset:         88
        .size:           2
        .value_kind:     hidden_grid_dims
    .group_segment_fixed_size: 528
    .kernarg_segment_align: 8
    .kernarg_segment_size: 280
    .language:       OpenCL C
    .language_version:
      - 2
      - 0
    .max_flat_workgroup_size: 128
    .name:           _Z11rank_kernelILj128ELj1ELj4ELb0EL18RadixRankAlgorithm2E12hip_bfloat16EvPKT4_Pijj
    .private_segment_fixed_size: 0
    .sgpr_count:     16
    .sgpr_spill_count: 0
    .symbol:         _Z11rank_kernelILj128ELj1ELj4ELb0EL18RadixRankAlgorithm2E12hip_bfloat16EvPKT4_Pijj.kd
    .uniform_work_group_size: 1
    .uses_dynamic_stack: false
    .vgpr_count:     15
    .vgpr_spill_count: 0
    .wavefront_size: 64
  - .args:
      - .address_space:  global
        .offset:         0
        .size:           8
        .value_kind:     global_buffer
      - .address_space:  global
        .offset:         8
        .size:           8
        .value_kind:     global_buffer
      - .offset:         16
        .size:           4
        .value_kind:     by_value
      - .offset:         20
        .size:           4
        .value_kind:     by_value
      - .offset:         24
        .size:           4
        .value_kind:     hidden_block_count_x
      - .offset:         28
        .size:           4
        .value_kind:     hidden_block_count_y
      - .offset:         32
        .size:           4
        .value_kind:     hidden_block_count_z
      - .offset:         36
        .size:           2
        .value_kind:     hidden_group_size_x
      - .offset:         38
        .size:           2
        .value_kind:     hidden_group_size_y
      - .offset:         40
        .size:           2
        .value_kind:     hidden_group_size_z
      - .offset:         42
        .size:           2
        .value_kind:     hidden_remainder_x
      - .offset:         44
        .size:           2
        .value_kind:     hidden_remainder_y
      - .offset:         46
        .size:           2
        .value_kind:     hidden_remainder_z
      - .offset:         64
        .size:           8
        .value_kind:     hidden_global_offset_x
      - .offset:         72
        .size:           8
        .value_kind:     hidden_global_offset_y
      - .offset:         80
        .size:           8
        .value_kind:     hidden_global_offset_z
      - .offset:         88
        .size:           2
        .value_kind:     hidden_grid_dims
    .group_segment_fixed_size: 528
    .kernarg_segment_align: 8
    .kernarg_segment_size: 280
    .language:       OpenCL C
    .language_version:
      - 2
      - 0
    .max_flat_workgroup_size: 128
    .name:           _Z11rank_kernelILj128ELj1ELj4ELb0EL18RadixRankAlgorithm2E6__halfEvPKT4_Pijj
    .private_segment_fixed_size: 0
    .sgpr_count:     16
    .sgpr_spill_count: 0
    .symbol:         _Z11rank_kernelILj128ELj1ELj4ELb0EL18RadixRankAlgorithm2E6__halfEvPKT4_Pijj.kd
    .uniform_work_group_size: 1
    .uses_dynamic_stack: false
    .vgpr_count:     15
    .vgpr_spill_count: 0
    .wavefront_size: 64
  - .args:
      - .address_space:  global
        .offset:         0
        .size:           8
        .value_kind:     global_buffer
      - .address_space:  global
        .offset:         8
        .size:           8
        .value_kind:     global_buffer
      - .offset:         16
        .size:           4
        .value_kind:     by_value
      - .offset:         20
        .size:           4
        .value_kind:     by_value
      - .offset:         24
        .size:           4
        .value_kind:     hidden_block_count_x
      - .offset:         28
        .size:           4
        .value_kind:     hidden_block_count_y
      - .offset:         32
        .size:           4
        .value_kind:     hidden_block_count_z
      - .offset:         36
        .size:           2
        .value_kind:     hidden_group_size_x
      - .offset:         38
        .size:           2
        .value_kind:     hidden_group_size_y
      - .offset:         40
        .size:           2
        .value_kind:     hidden_group_size_z
      - .offset:         42
        .size:           2
        .value_kind:     hidden_remainder_x
      - .offset:         44
        .size:           2
        .value_kind:     hidden_remainder_y
      - .offset:         46
        .size:           2
        .value_kind:     hidden_remainder_z
      - .offset:         64
        .size:           8
        .value_kind:     hidden_global_offset_x
      - .offset:         72
        .size:           8
        .value_kind:     hidden_global_offset_y
      - .offset:         80
        .size:           8
        .value_kind:     hidden_global_offset_z
      - .offset:         88
        .size:           2
        .value_kind:     hidden_grid_dims
    .group_segment_fixed_size: 272
    .kernarg_segment_align: 8
    .kernarg_segment_size: 280
    .language:       OpenCL C
    .language_version:
      - 2
      - 0
    .max_flat_workgroup_size: 64
    .name:           _Z11rank_kernelILj64ELj1ELj4ELb0EL18RadixRankAlgorithm2EjEvPKT4_Pijj
    .private_segment_fixed_size: 0
    .sgpr_count:     14
    .sgpr_spill_count: 0
    .symbol:         _Z11rank_kernelILj64ELj1ELj4ELb0EL18RadixRankAlgorithm2EjEvPKT4_Pijj.kd
    .uniform_work_group_size: 1
    .uses_dynamic_stack: false
    .vgpr_count:     12
    .vgpr_spill_count: 0
    .wavefront_size: 64
amdhsa.target:   amdgcn-amd-amdhsa--gfx906
amdhsa.version:
  - 1
  - 2
...

	.end_amdgpu_metadata
